;; amdgpu-corpus repo=ROCm/aiter kind=harvested arch=n/a opt=n/a

/root/src/amdgpu-assembly/repos/ROCm__aiter/hsa/gfx942/fmha_v3_bwd/bwd_hd64_bf16_a16_rtne.co:	file format elf64-amdgpu

Disassembly of section .text:

0000000000003e00 <_ZN5aiter27fmha_bwd_hd64_bf16_a16_rtneE>:
	s_and_b32 s1, s1, 0xffff                                   // 000000003E00: 8601FF01 0000FFFF
	s_load_dwordx2 s[32:33], s[0:1], 0x0                       // 000000003E08: C0060800 00000000
	s_load_dwordx2 s[36:37], s[0:1], 0x10                      // 000000003E10: C0060900 00000010
	s_load_dwordx2 s[40:41], s[0:1], 0x20                      // 000000003E18: C0060A00 00000020
	s_load_dwordx2 s[8:9], s[0:1], 0x30                        // 000000003E20: C0060200 00000030
	s_load_dwordx2 s[12:13], s[0:1], 0x40                      // 000000003E28: C0060300 00000040
	s_load_dwordx2 s[16:17], s[0:1], 0x50                      // 000000003E30: C0060400 00000050
	s_load_dwordx2 s[20:21], s[0:1], 0x60                      // 000000003E38: C0060500 00000060
	s_load_dwordx2 s[24:25], s[0:1], 0x70                      // 000000003E40: C0060600 00000070
	s_load_dwordx2 s[28:29], s[0:1], 0x80                      // 000000003E48: C0060700 00000080
	s_load_dword s48, s[0:1], 0x90                             // 000000003E50: C0020C00 00000090
	s_load_dword s49, s[0:1], 0xa0                             // 000000003E58: C0020C40 000000A0
	s_load_dword s50, s[0:1], 0xb0                             // 000000003E60: C0020C80 000000B0
	s_load_dword s51, s[0:1], 0xc0                             // 000000003E68: C0020CC0 000000C0
	s_load_dword s52, s[0:1], 0xd0                             // 000000003E70: C0020D00 000000D0
	s_load_dword s53, s[0:1], 0xe0                             // 000000003E78: C0020D40 000000E0
	s_load_dword s70, s[0:1], 0xf0                             // 000000003E80: C0021180 000000F0
	s_load_dword s44, s[0:1], 0x100                            // 000000003E88: C0020B00 00000100
	s_load_dword s5, s[0:1], 0x110                             // 000000003E90: C0020140 00000110
	s_load_dword s6, s[0:1], 0x120                             // 000000003E98: C0020180 00000120
	s_load_dword s7, s[0:1], 0x130                             // 000000003EA0: C00201C0 00000130
	s_load_dword s46, s[0:1], 0x140                            // 000000003EA8: C0020B80 00000140
	s_load_dword s87, s[0:1], 0x180                            // 000000003EB0: C00215C0 00000180
	s_load_dword s86, s[0:1], 0x240                            // 000000003EB8: C0021580 00000240
	v_lshrrev_b32_e32 v1, 10, v0                               // 000000003EC0: 2002008A
	v_lshrrev_b32_e32 v2, 10, v1                               // 000000003EC4: 2004028A
	v_and_b32_e32 v2, 0x3ff, v2                                // 000000003EC8: 260404FF 000003FF
	v_and_b32_e32 v1, 0x3ff, v1                                // 000000003ED0: 260202FF 000003FF
	v_and_b32_e32 v0, 0x3ff, v0                                // 000000003ED8: 260000FF 000003FF
	v_lshrrev_b32_e32 v3, 6, v0                                // 000000003EE0: 20060086
	v_and_b32_e32 v0, 63, v0                                   // 000000003EE4: 260000BF
	s_mov_b32 s2, s2                                           // 000000003EE8: BE820002
	s_mov_b32 s3, s3                                           // 000000003EEC: BE830003
	s_mov_b32 s4, s4                                           // 000000003EF0: BE840004
	v_readfirstlane_b32 s47, v3                                // 000000003EF4: 7E5E0503
	s_waitcnt lgkmcnt(0)                                       // 000000003EF8: BF8CC07F
	s_mov_b32 s10, 0x80000000                                  // 000000003EFC: BE8A00FF 80000000
	s_mov_b32 s14, 0x80000000                                  // 000000003F04: BE8E00FF 80000000
	s_mov_b32 s18, 0x80000000                                  // 000000003F0C: BE9200FF 80000000
	s_mov_b32 s22, 0x80000000                                  // 000000003F14: BE9600FF 80000000
	s_mov_b32 s26, 0x80000000                                  // 000000003F1C: BE9A00FF 80000000
	s_mov_b32 s30, 0x80000000                                  // 000000003F24: BE9E00FF 80000000
	s_mov_b32 s38, 0x80000000                                  // 000000003F2C: BEA600FF 80000000
	s_mov_b32 s42, 0x80000000                                  // 000000003F34: BEAA00FF 80000000
	s_mov_b32 s11, 0x20000                                     // 000000003F3C: BE8B00FF 00020000
	s_mov_b32 s15, 0x20000                                     // 000000003F44: BE8F00FF 00020000
	s_mov_b32 s19, 0x20000                                     // 000000003F4C: BE9300FF 00020000
	s_mov_b32 s23, 0x20000                                     // 000000003F54: BE9700FF 00020000
	s_mov_b32 s27, 0x20000                                     // 000000003F5C: BE9B00FF 00020000
	s_mov_b32 s31, 0x20000                                     // 000000003F64: BE9F00FF 00020000
	s_mov_b32 s39, 0x20000                                     // 000000003F6C: BEA700FF 00020000
	s_mov_b32 s43, 0x20000                                     // 000000003F74: BEAB00FF 00020000
	s_and_b32 s9, s9, 0xffff                                   // 000000003F7C: 8609FF09 0000FFFF
	s_and_b32 s13, s13, 0xffff                                 // 000000003F84: 860DFF0D 0000FFFF
	s_and_b32 s17, s17, 0xffff                                 // 000000003F8C: 8611FF11 0000FFFF
	s_and_b32 s21, s21, 0xffff                                 // 000000003F94: 8615FF15 0000FFFF
	s_and_b32 s25, s25, 0xffff                                 // 000000003F9C: 8619FF19 0000FFFF
	s_and_b32 s29, s29, 0xffff                                 // 000000003FA4: 861DFF1D 0000FFFF
	s_and_b32 s37, s37, 0xffff                                 // 000000003FAC: 8625FF25 0000FFFF
	s_and_b32 s41, s41, 0xffff                                 // 000000003FB4: 8629FF29 0000FFFF
	s_or_b32 s9, s9, 0x40000                                   // 000000003FBC: 8709FF09 00040000
	s_or_b32 s13, s13, 0x40000                                 // 000000003FC4: 870DFF0D 00040000
	s_or_b32 s17, s17, 0x40000                                 // 000000003FCC: 8711FF11 00040000
	s_or_b32 s21, s21, 0x40000                                 // 000000003FD4: 8715FF15 00040000
	s_or_b32 s25, s25, 0x40000                                 // 000000003FDC: 8719FF19 00040000
	s_or_b32 s29, s29, 0x40000                                 // 000000003FE4: 871DFF1D 00040000
	s_or_b32 s37, s37, 0x40000                                 // 000000003FEC: 8725FF25 00040000
	s_or_b32 s41, s41, 0x40000                                 // 000000003FF4: 8729FF29 00040000
	v_accvgpr_write_b32 a159, 0                                // 000000003FFC: D3D9409F 18000080
	v_mov_b32_e32 v230, 0                                      // 000000004004: 7FCC0280
	s_mov_b32 s78, s8                                          // 000000004008: BECE0008
	s_mov_b32 s80, s12                                         // 00000000400C: BED0000C
	s_mov_b32 s82, s16                                         // 000000004010: BED20010
	s_mov_b32 s84, s20                                         // 000000004014: BED40014
	s_mov_b32 s79, s9                                          // 000000004018: BECF0009
	s_mov_b32 s81, s13                                         // 00000000401C: BED1000D
	s_mov_b32 s83, s17                                         // 000000004020: BED30011
	s_mov_b32 s85, s21                                         // 000000004024: BED50015
	s_mov_b32 s71, s3                                          // 000000004028: BEC70003
	v_cvt_f32_u32_e32 v32, s44                                 // 00000000402C: 7E400C2C
	s_sub_i32 s60, 0, s44                                      // 000000004030: 81BC2C80
	v_rcp_iflag_f32_e32 v32, v32                               // 000000004034: 7E404720
	s_nop 0                                                    // 000000004038: BF800000
	v_mul_f32_e32 v32, 0x4f7ffffe, v32                         // 00000000403C: 0A4040FF 4F7FFFFE
	v_cvt_u32_f32_e32 v32, v32                                 // 000000004044: 7E400F20
	v_mul_lo_u32 v33, s60, v32                                 // 000000004048: D2850021 0002403C
	v_mul_hi_u32 v33, v32, v33                                 // 000000004050: D2860021 00024320
	v_add_u32_e32 v32, v32, v33                                // 000000004058: 68404320
	v_mul_hi_u32 v32, s71, v32                                 // 00000000405C: D2860020 00024047
	v_mul_lo_u32 v33, v32, s44                                 // 000000004064: D2850021 00005920
	v_sub_u32_e32 v35, s71, v33                                // 00000000406C: 6A464247
	v_add_u32_e32 v34, 1, v32                                  // 000000004070: 68444081
	v_cmp_le_u32_e32 vcc, s44, v35                             // 000000004074: 7D96462C
	v_subrev_u32_e32 v33, s44, v35                             // 000000004078: 6C42462C
	s_nop 0                                                    // 00000000407C: BF800000
	v_cndmask_b32_e32 v32, v32, v34, vcc                       // 000000004080: 00404520
	v_cndmask_b32_e32 v35, v35, v33, vcc                       // 000000004084: 00464323
	v_add_u32_e32 v33, 1, v32                                  // 000000004088: 68424081
	v_cmp_le_u32_e32 vcc, s44, v35                             // 00000000408C: 7D96462C
	s_nop 1                                                    // 000000004090: BF800001
	v_cndmask_b32_e32 v35, v32, v33, vcc                       // 000000004094: 00464320
	s_nop 3                                                    // 000000004098: BF800003
	v_readfirstlane_b32 s45, v35                               // 00000000409C: 7E5A0523
	s_nop 3                                                    // 0000000040A0: BF800003
	v_mov_b32_e32 v32, s48                                     // 0000000040A4: 7E400230
	v_mul_f32_e32 v32, s49, v32                                // 0000000040A8: 0A404031
	s_mov_b32 s66, 0                                           // 0000000040AC: BEC20080
	s_mov_b32 s58, s50                                         // 0000000040B0: BEBA0032
	s_mov_b32 s59, 0                                           // 0000000040B4: BEBB0080
	s_mov_b32 s63, 0x5040100                                   // 0000000040B8: BEBF00FF 05040100
	s_mov_b32 s64, 0x7060302                                   // 0000000040C0: BEC000FF 07060302
	v_readfirstlane_b32 s57, v32                               // 0000000040C8: 7E720520
	v_mov_b32_e32 v34, 0x3020706                               // 0000000040CC: 7E4402FF 03020706
	v_mov_b32_e32 v32, s63                                     // 0000000040D4: 7E40023F
	v_and_b32_e32 v33, 1, v0                                   // 0000000040D8: 26420081
	v_cmp_eq_u32_e32 vcc, 1, v33                               // 0000000040DC: 7D944281
	s_mul_i32 s67, 32, s70                                     // 0000000040E0: 924346A0
	v_cndmask_b32_e32 v21, v32, v34, vcc                       // 0000000040E4: 002A4520
	v_mov_b32_e32 v227, 0xffff0000                             // 0000000040E8: 7FC602FF FFFF0000
	v_mov_b32_e32 v228, 0x7fff0000                             // 0000000040F0: 7FC802FF 7FFF0000
	v_mov_b32_e32 v229, 0x7fff                                 // 0000000040F8: 7FCA02FF 00007FFF
	s_cmp_lt_u32 s47, 2                                        // 000000004100: BF0A822F
	s_cselect_b32 s24, s24, s28                                // 000000004104: 85181C18
	s_cselect_b32 s25, s25, s29                                // 000000004108: 85191D19
	s_cselect_b32 s26, s26, s30                                // 00000000410C: 851A1E1A
	s_cselect_b32 s27, s27, s31                                // 000000004110: 851B1F1B
	s_lshr_b32 s60, s47, 1                                     // 000000004114: 8F3C812F
	s_lshl_b32 s60, s60, 8                                     // 000000004118: 8E3C883C
	s_add_u32 s76, 0x8b00, s60                                 // 00000000411C: 804C3CFF 00008B00
	s_add_u32 s77, 0x200, s76                                  // 000000004124: 804D4CFF 00000200
	s_mov_b32 m0, s76                                          // 00000000412C: BEFC004C
	v_mov_b32_e32 v230, 0xff800000                             // 000000004130: 7FCC02FF FF800000
	s_mul_i32 s68, 32, s70                                     // 000000004138: 924446A0
	s_mov_b32 s69, 32                                          // 00000000413C: BEC500A0
	s_mul_i32 s60, s2, s51                                     // 000000004140: 923C3302
	s_mul_i32 s61, s45, s5                                     // 000000004144: 923D052D
	s_add_u32 s54, s60, s61                                    // 000000004148: 80363D3C
	s_mul_i32 s61, s3, s52                                     // 00000000414C: 923D3403
	s_mov_b32 s55, s61                                         // 000000004150: BEB7003D
	s_mov_b32 s56, s55                                         // 000000004154: BEB80037
	s_mul_i32 s62, s4, s87                                     // 000000004158: 923E5704
	s_mul_i32 s62, s62, s86                                    // 00000000415C: 923E563E
	s_mul_i32 s61, s3, s86                                     // 000000004160: 923D5603
	s_add_u32 s65, s61, s62                                    // 000000004164: 80413E3D
	s_mov_b32 s71, s7                                          // 000000004168: BEC70007
	v_lshrrev_b32_e32 v32, 4, v0                               // 00000000416C: 20400084
	v_and_b32_e32 v33, 1, v32                                  // 000000004170: 26424081
	v_lshlrev_b32_e32 v33, 1, v33                              // 000000004174: 24424281
	v_mul_i32_i24_e32 v33, s71, v33                            // 000000004178: 0C424247
	v_and_b32_e32 v34, 2, v32                                  // 00000000417C: 26444082
	v_lshlrev_b32_e32 v34, 5, v34                              // 000000004180: 24444485
	v_add_u32_e32 v33, v34, v33                                // 000000004184: 68424322
	v_and_b32_e32 v32, 15, v0                                  // 000000004188: 2640008F
	v_lshlrev_b32_e32 v32, 2, v32                              // 00000000418C: 24404082
	v_add_u32_e32 v1, v32, v33                                 // 000000004190: 68024320
	s_mul_i32 s60, s47, s71                                    // 000000004194: 923C472F
	s_mul_i32 s60, s60, 4                                      // 000000004198: 923C843C
	v_add_u32_e32 v1, s60, v1                                  // 00000000419C: 6802023C
	v_add_u32_e32 v2, s71, v1                                  // 0000000041A0: 68040247
	s_mul_i32 s60, 16, s71                                     // 0000000041A4: 923C4790
	v_add_u32_e32 v3, s60, v1                                  // 0000000041A8: 6806023C
	v_add_u32_e32 v4, s60, v2                                  // 0000000041AC: 6808043C
	v_lshrrev_b32_e32 v1, 2, v1                                // 0000000041B0: 20020282
	v_lshrrev_b32_e32 v2, 2, v2                                // 0000000041B4: 20040482
	s_add_u32 s12, s54, s80                                    // 0000000041B8: 800C5036
	s_addc_u32 s13, 0, s81                                     // 0000000041BC: 820D5180
	s_mul_i32 s60, s4, s6                                      // 0000000041C0: 923C0604
	s_mul_hi_u32 s61, s4, s6                                   // 0000000041C4: 963D0604
	s_and_b32 s61, s61, 0xffff                                 // 0000000041C8: 863DFF3D 0000FFFF
	s_add_u32 s12, s12, s60                                    // 0000000041D0: 800C3C0C
	s_addc_u32 s13, s13, s61                                   // 0000000041D4: 820D3D0D
	s_add_u32 s16, s54, s82                                    // 0000000041D8: 80105236
	s_addc_u32 s17, 0, s83                                     // 0000000041DC: 82115380
	s_add_u32 s16, s16, s60                                    // 0000000041E0: 80103C10
	s_addc_u32 s17, s17, s61                                   // 0000000041E4: 82113D11
	s_add_u32 s8, s55, s78                                     // 0000000041E8: 80084E37
	s_addc_u32 s9, 0, s79                                      // 0000000041EC: 82094F80
	s_mul_i32 s60, s4, s53                                     // 0000000041F0: 923C3504
	s_mul_hi_u32 s61, s4, s53                                  // 0000000041F4: 963D3504
	s_and_b32 s61, s61, 0xffff                                 // 0000000041F8: 863DFF3D 0000FFFF
	s_add_u32 s8, s8, s60                                      // 000000004200: 80083C08
	s_addc_u32 s9, s9, s61                                     // 000000004204: 82093D09
	s_add_u32 s20, s56, s84                                    // 000000004208: 80145438
	s_addc_u32 s21, 0, s85                                     // 00000000420C: 82155580
	s_add_u32 s20, s20, s60                                    // 000000004210: 80143C14
	s_addc_u32 s21, s21, s61                                   // 000000004214: 82153D15
	v_and_b32_e32 v15, 31, v0                                  // 000000004218: 261E009F
	v_lshlrev_b32_e32 v15, 2, v15                              // 00000000421C: 241E1E82
	v_add_u32_e32 v15, s65, v15                                // 000000004220: 681E1E41
	v_lshrrev_b32_e32 v15, 2, v15                              // 000000004224: 201E1E82
	v_lshrrev_b32_e32 v32, 3, v0                               // 000000004228: 20400083
	v_mul_i32_i24_e32 v5, s46, v32                             // 00000000422C: 0C0A402E
	v_lshrrev_b32_e32 v5, 2, v5                                // 000000004230: 200A0A82
	v_and_b32_e32 v32, 7, v0                                   // 000000004234: 26400087
	v_lshlrev_b32_e32 v33, 2, v32                              // 000000004238: 24424082
	v_add_u32_e32 v5, v33, v5                                  // 00000000423C: 680A0B21
	s_mul_i32 s60, 16, s46                                     // 000000004240: 923C2E90
	s_mul_i32 s60, s47, s60                                    // 000000004244: 923C3C2F
	v_lshlrev_b32_e32 v5, 2, v5                                // 000000004248: 240A0A82
	v_add_u32_e32 v5, s60, v5                                  // 00000000424C: 680A0A3C
	s_mul_i32 s60, 0xc0, s46                                   // 000000004250: 923C2EFF 000000C0
	s_mul_i32 s60, s2, s60                                     // 000000004258: 923C3C02
	s_mul_i32 s61, s3, s5                                      // 00000000425C: 923D0503
	s_add_u32 s60, s60, s61                                    // 000000004260: 803C3D3C
	v_add_u32_e32 v5, s60, v5                                  // 000000004264: 680A0A3C
	v_lshrrev_b32_e32 v5, 2, v5                                // 000000004268: 200A0A82
	v_mov_b32_e32 v14, v5                                      // 00000000426C: 7E1C0305
	s_mul_i32 s60, s6, s44                                     // 000000004270: 923C2C06
	s_mul_i32 s62, s4, s60                                     // 000000004274: 923E3C04
	s_mul_hi_u32 s60, s4, s60                                  // 000000004278: 963C3C04
	s_and_b32 s60, s60, 0xffff                                 // 00000000427C: 863CFF3C 0000FFFF
	s_add_u32 s36, s36, s62                                    // 000000004284: 80243E24
	s_addc_u32 s37, s37, s60                                   // 000000004288: 82253C25
	s_add_u32 s40, s40, s62                                    // 00000000428C: 80283E28
	s_addc_u32 s41, s41, s60                                   // 000000004290: 82293C29
	v_lshrrev_b32_e32 v32, 5, v0                               // 000000004294: 20400085
	v_mul_i32_i24_e32 v6, s70, v32                             // 000000004298: 0C0C4046
	v_lshrrev_b32_e32 v6, 2, v6                                // 00000000429C: 200C0C82
	v_and_b32_e32 v32, 31, v0                                  // 0000000042A0: 2640009F
	v_add_u32_e32 v6, v32, v6                                  // 0000000042A4: 680C0D20
	s_mul_i32 s60, s70, 2                                      // 0000000042A8: 923C8246
	s_mul_i32 s60, s47, s60                                    // 0000000042AC: 923C3C2F
	v_add_u32_e32 v6, s60, v6                                  // 0000000042B0: 680C0C3C
	v_lshlrev_b32_e32 v6, 2, v6                                // 0000000042B4: 240C0C82
	s_mul_i32 s60, 2, s70                                      // 0000000042B8: 923C4682
	v_add_u32_e32 v7, s60, v6                                  // 0000000042BC: 680E0C3C
	v_add_u32_e32 v8, s60, v7                                  // 0000000042C0: 68100E3C
	v_add_u32_e32 v9, s60, v8                                  // 0000000042C4: 6812103C
	s_mov_b32 s72, s55                                         // 0000000042C8: BEC80037
	v_add_u32_e32 v12, s72, v9                                 // 0000000042CC: 68181248
	v_add_u32_e32 v10, s72, v8                                 // 0000000042D0: 68141048
	v_add_u32_e32 v8, s72, v7                                  // 0000000042D4: 68100E48
	v_add_u32_e32 v6, s72, v6                                  // 0000000042D8: 680C0C48
	v_mov_b32_e32 v7, 0                                        // 0000000042DC: 7E0E0280
	v_mov_b32_e32 v9, 0                                        // 0000000042E0: 7E120280
	v_mov_b32_e32 v11, 0                                       // 0000000042E4: 7E160280
	v_mov_b32_e32 v13, 0                                       // 0000000042E8: 7E1A0280
	s_mul_i32 s60, s4, s53                                     // 0000000042EC: 923C3504
	s_mul_hi_u32 s61, s4, s53                                  // 0000000042F0: 963D3504
	s_and_b32 s61, s61, 0xffff                                 // 0000000042F4: 863DFF3D 0000FFFF
	s_add_u32 s32, s32, s60                                    // 0000000042FC: 80203C20
	s_addc_u32 s33, s33, s61                                   // 000000004300: 82213D21
	s_mul_i32 s60, 3, s2                                       // 000000004304: 923C0283
	s_lshr_b32 s61, s50, 6                                     // 000000004308: 8F3D8632
	s_sub_i32 s73, s61, s60                                    // 00000000430C: 81C93C3D
	s_cmp_lt_i32 s73, 3                                        // 000000004310: BF048349
	s_cselect_b32 s73, s73, 3                                  // 000000004314: 85498349
	v_and_b32_e32 v32, 31, v0                                  // 000000004318: 2640009F
	v_lshrrev_b32_e32 v32, 1, v32                              // 00000000431C: 20404081
	v_and_b32_e32 v33, 1, v32                                  // 000000004320: 26424081
	v_lshlrev_b32_e32 v33, 4, v33                              // 000000004324: 24424284
	v_and_b32_e32 v34, 2, v32                                  // 000000004328: 26444082
	v_lshlrev_b32_e32 v34, 2, v34                              // 00000000432C: 24444482
	v_add_u32_e32 v33, v34, v33                                // 000000004330: 68424322
	v_and_b32_e32 v34, 12, v32                                 // 000000004334: 2644408C
	v_lshrrev_b32_e32 v34, 1, v34                              // 000000004338: 20444481
	v_add_u32_e32 v33, v34, v33                                // 00000000433C: 68424322
	v_lshrrev_b32_e32 v32, 5, v0                               // 000000004340: 20400085
	v_mul_i32_i24_e32 v34, 0x80, v32                           // 000000004344: 0C4440FF 00000080
	v_add_u32_e32 v33, v34, v33                                // 00000000434C: 68424322
	v_and_b32_e32 v34, 1, v0                                   // 000000004350: 26440081
	v_add_u32_e32 v17, v34, v33                                // 000000004354: 68224322
	s_mul_i32 s60, s47, 32                                     // 000000004358: 923CA02F
	v_add_u32_e32 v17, s60, v17                                // 00000000435C: 6822223C
	v_lshlrev_b32_e32 v17, 2, v17                              // 000000004360: 24222282
	v_lshrrev_b32_e32 v32, 4, v0                               // 000000004364: 20400084
	v_and_b32_e32 v33, 1, v32                                  // 000000004368: 26424081
	v_lshlrev_b32_e32 v33, 4, v33                              // 00000000436C: 24424284
	v_and_b32_e32 v34, 2, v32                                  // 000000004370: 26444082
	v_mul_i32_i24_e32 v34, 4, v34                              // 000000004374: 0C444484
	v_add_u32_e32 v33, v34, v33                                // 000000004378: 68424322
	v_and_b32_e32 v32, 15, v0                                  // 00000000437C: 2640008F
	v_lshrrev_b32_e32 v34, 2, v32                              // 000000004380: 20444082
	v_lshlrev_b32_e32 v34, 5, v34                              // 000000004384: 24444485
	v_add_u32_e32 v33, v34, v33                                // 000000004388: 68424322
	v_and_b32_e32 v32, 3, v0                                   // 00000000438C: 26400083
	v_and_b32_e32 v34, 1, v32                                  // 000000004390: 26444081
	v_mul_i32_i24_e32 v34, 0x108, v34                          // 000000004394: 0C4444FF 00000108
	v_add_u32_e32 v33, v34, v33                                // 00000000439C: 68424322
	v_and_b32_e32 v34, 2, v32                                  // 0000000043A0: 26444082
	v_lshlrev_b32_e32 v34, 1, v34                              // 0000000043A4: 24444481
	v_add_u32_e32 v16, v34, v33                                // 0000000043A8: 68204322
	v_lshlrev_b32_e32 v16, 2, v16                              // 0000000043AC: 24202082
	s_mul_i32 s60, s47, 0x880                                  // 0000000043B0: 923CFF2F 00000880
	v_add_u32_e32 v28, s60, v16                                // 0000000043B8: 6838203C
	v_lshrrev_b32_e32 v32, 5, v0                               // 0000000043BC: 20400085
	v_mul_i32_i24_e32 v19, 0x80, v32                           // 0000000043C0: 0C2640FF 00000080
	v_and_b32_e32 v32, 31, v0                                  // 0000000043C8: 2640009F
	v_and_b32_e32 v33, 7, v32                                  // 0000000043CC: 26424087
	v_and_b32_e32 v34, 1, v33                                  // 0000000043D0: 26444281
	v_lshlrev_b32_e32 v34, 2, v34                              // 0000000043D4: 24444482
	v_add_u32_e32 v19, v34, v19                                // 0000000043D8: 68262722
	v_and_b32_e32 v34, 2, v33                                  // 0000000043DC: 26444282
	v_lshlrev_b32_e32 v34, 3, v34                              // 0000000043E0: 24444483
	v_add_u32_e32 v19, v34, v19                                // 0000000043E4: 68262722
	v_and_b32_e32 v34, 4, v33                                  // 0000000043E8: 26444284
	v_lshlrev_b32_e32 v34, 1, v34                              // 0000000043EC: 24444481
	v_add_u32_e32 v19, v34, v19                                // 0000000043F0: 68262722
	v_lshrrev_b32_e32 v33, 3, v32                              // 0000000043F4: 20424083
	v_and_b32_e32 v34, 1, v33                                  // 0000000043F8: 26444281
	v_lshlrev_b32_e32 v34, 1, v34                              // 0000000043FC: 24444481
	v_add_u32_e32 v19, v34, v19                                // 000000004400: 68262722
	v_and_b32_e32 v34, 2, v33                                  // 000000004404: 26444282
	v_lshrrev_b32_e32 v34, 1, v34                              // 000000004408: 20444481
	v_add_u32_e32 v19, v34, v19                                // 00000000440C: 68262722
	s_mul_i32 s60, s47, 32                                     // 000000004410: 923CA02F
	v_add_u32_e32 v19, s60, v19                                // 000000004414: 6826263C
	v_lshlrev_b32_e32 v19, 2, v19                              // 000000004418: 24262682
	v_and_b32_e32 v32, 15, v0                                  // 00000000441C: 2640008F
	v_and_b32_e32 v34, 1, v32                                  // 000000004420: 26444081
	v_mul_i32_i24_e32 v18, 0x108, v34                          // 000000004424: 0C2444FF 00000108
	v_and_b32_e32 v34, 2, v32                                  // 00000000442C: 26444082
	v_lshlrev_b32_e32 v34, 1, v34                              // 000000004430: 24444481
	v_add_u32_e32 v18, v34, v18                                // 000000004434: 68242522
	v_and_b32_e32 v34, 4, v32                                  // 000000004438: 26444084
	v_lshlrev_b32_e32 v34, 2, v34                              // 00000000443C: 24444482
	v_add_u32_e32 v18, v34, v18                                // 000000004440: 68242522
	v_and_b32_e32 v34, 8, v32                                  // 000000004444: 26444088
	v_add_u32_e32 v18, v34, v18                                // 000000004448: 68242522
	v_lshrrev_b32_e32 v32, 4, v0                               // 00000000444C: 20400084
	v_and_b32_e32 v34, 1, v32                                  // 000000004450: 26444081
	v_lshlrev_b32_e32 v34, 5, v34                              // 000000004454: 24444485
	v_add_u32_e32 v18, v34, v18                                // 000000004458: 68242522
	v_and_b32_e32 v33, 2, v32                                  // 00000000445C: 26424082
	v_mul_i32_i24_e32 v34, 32, v33                             // 000000004460: 0C4442A0
	v_mul_i32_i24_e32 v33, 0x110, v33                          // 000000004464: 0C4242FF 00000110
	v_add_u32_e32 v29, v33, v18                                // 00000000446C: 683A2521
	v_add_u32_e32 v18, v34, v18                                // 000000004470: 68242522
	v_lshlrev_b32_e32 v18, 2, v18                              // 000000004474: 24242482
	v_lshlrev_b32_e32 v29, 2, v29                              // 000000004478: 243A3A82
	s_and_b32 s60, 1, s47                                      // 00000000447C: 863C2F81
	s_mul_i32 s60, s60, 0x200                                  // 000000004480: 923CFF3C 00000200
	v_add_u32_e32 v29, s60, v29                                // 000000004488: 683A3A3C
	v_lshrrev_b32_e32 v32, 4, v0                               // 00000000448C: 20400084
	v_mul_i32_i24_e32 v27, 4, v32                              // 000000004490: 0C364084
	v_and_b32_e32 v33, 3, v0                                   // 000000004494: 26420083
	v_add_u32_e32 v27, v33, v27                                // 000000004498: 68363721
	v_lshlrev_b32_e32 v27, 2, v27                              // 00000000449C: 24363682
	v_lshrrev_b32_e32 v32, 5, v0                               // 0000000044A0: 20400085
	v_mul_i32_i24_e32 v25, 2, v32                              // 0000000044A4: 0C324082
	v_and_b32_e32 v32, 31, v0                                  // 0000000044A8: 2640009F
	v_lshrrev_b32_e32 v32, 1, v32                              // 0000000044AC: 20404081
	v_mul_i32_i24_e32 v33, 34, v32                             // 0000000044B0: 0C4240A2
	v_add_u32_e32 v25, v33, v25                                // 0000000044B4: 68323321
	v_and_b32_e32 v33, 1, v0                                   // 0000000044B8: 26420081
	v_add_u32_e32 v25, v33, v25                                // 0000000044BC: 68323321
	s_and_b32 s60, 1, s47                                      // 0000000044C0: 863C2F81
	s_mul_i32 s60, s60, 16                                     // 0000000044C4: 923C903C
	s_lshr_b32 s61, s47, 1                                     // 0000000044C8: 8F3D812F
	s_mul_i32 s61, s61, 0x220                                  // 0000000044CC: 923DFF3D 00000220
	s_add_u32 s60, s60, s61                                    // 0000000044D4: 803C3D3C
	v_add_u32_e32 v25, s60, v25                                // 0000000044D8: 6832323C
	v_lshlrev_b32_e32 v25, 2, v25                              // 0000000044DC: 24323282
	v_lshrrev_b32_e32 v32, 4, v0                               // 0000000044E0: 20400084
	v_mul_i32_i24_e32 v26, 34, v32                             // 0000000044E4: 0C3440A2
	v_and_b32_e32 v32, 15, v0                                  // 0000000044E8: 2640008F
	v_mul_i32_i24_e32 v33, 2, v32                              // 0000000044EC: 0C424082
	v_add_u32_e32 v26, v33, v26                                // 0000000044F0: 68343521
	s_mul_i32 s60, s47, 0x110                                  // 0000000044F4: 923CFF2F 00000110
	v_add_u32_e32 v26, s60, v26                                // 0000000044FC: 6834343C
	v_lshlrev_b32_e32 v26, 2, v26                              // 000000004500: 24343482
	v_lshrrev_b32_e32 v32, 5, v0                               // 000000004504: 20400085
	v_mul_i32_i24_e32 v23, 64, v32                             // 000000004508: 0C2E40C0
	v_and_b32_e32 v32, 31, v0                                  // 00000000450C: 2640009F
	v_and_b32_e32 v32, 3, v32                                  // 000000004510: 26404083
	v_and_b32_e32 v33, 1, v32                                  // 000000004514: 26424081
	v_mul_i32_i24_e32 v33, 4, v33                              // 000000004518: 0C424284
	v_add_u32_e32 v23, v33, v23                                // 00000000451C: 682E2F21
	v_and_b32_e32 v33, 2, v32                                  // 000000004520: 26424082
	v_mul_i32_i24_e32 v33, 0x44, v33                           // 000000004524: 0C4242FF 00000044
	v_add_u32_e32 v23, v33, v23                                // 00000000452C: 682E2F21
	v_and_b32_e32 v32, 31, v0                                  // 000000004530: 2640009F
	v_lshrrev_b32_e32 v32, 2, v32                              // 000000004534: 20404082
	v_lshrrev_b32_e32 v34, 2, v32                              // 000000004538: 20444082
	v_mul_i32_i24_e32 v33, 16, v34                             // 00000000453C: 0C424490
	v_add_u32_e32 v23, v33, v23                                // 000000004540: 682E2F21
	v_and_b32_e32 v33, 2, v32                                  // 000000004544: 26424082
	v_lshlrev_b32_e32 v33, 4, v33                              // 000000004548: 24424284
	v_add_u32_e32 v23, v33, v23                                // 00000000454C: 682E2F21
	v_and_b32_e32 v33, 1, v32                                  // 000000004550: 26424081
	v_xor_b32_e32 v33, v34, v33                                // 000000004554: 2A424322
	v_mul_i32_i24_e32 v33, 8, v33                              // 000000004558: 0C424288
	v_add_u32_e32 v23, v33, v23                                // 00000000455C: 682E2F21
	s_lshr_b32 s60, s47, 1                                     // 000000004560: 8F3C812F
	s_mul_i32 s60, s60, 0x6c0                                  // 000000004564: 923CFF3C 000006C0
	v_add_u32_e32 v23, s60, v23                                // 00000000456C: 682E2E3C
	v_lshlrev_b32_e32 v23, 2, v23                              // 000000004570: 242E2E82
	v_lshrrev_b32_e32 v32, 5, v0                               // 000000004574: 20400085
	v_mul_i32_i24_e32 v24, 32, v32                             // 000000004578: 0C3040A0
	v_and_b32_e32 v32, 31, v0                                  // 00000000457C: 2640009F
	v_and_b32_e32 v32, 3, v32                                  // 000000004580: 26404083
	v_and_b32_e32 v33, 1, v32                                  // 000000004584: 26424081
	v_mul_i32_i24_e32 v33, 4, v33                              // 000000004588: 0C424284
	v_add_u32_e32 v24, v33, v24                                // 00000000458C: 68303121
	v_and_b32_e32 v33, 2, v32                                  // 000000004590: 26424082
	v_lshrrev_b32_e32 v33, 1, v33                              // 000000004594: 20424281
	v_add_u32_e32 v24, v33, v24                                // 000000004598: 68303121
	v_and_b32_e32 v32, 31, v0                                  // 00000000459C: 2640009F
	v_lshrrev_b32_e32 v32, 2, v32                              // 0000000045A0: 20404082
	v_and_b32_e32 v34, 1, v32                                  // 0000000045A4: 26444081
	v_mul_i32_i24_e32 v33, 16, v34                             // 0000000045A8: 0C424490
	v_add_u32_e32 v24, v33, v24                                // 0000000045AC: 68303121
	v_and_b32_e32 v33, 2, v32                                  // 0000000045B0: 26424082
	v_add_u32_e32 v24, v33, v24                                // 0000000045B4: 68303121
	v_lshrrev_b32_e32 v33, 2, v32                              // 0000000045B8: 20424082
	v_xor_b32_e32 v33, v34, v33                                // 0000000045BC: 2A424322
	v_mul_i32_i24_e32 v33, 8, v33                              // 0000000045C0: 0C424288
	v_add_u32_e32 v24, v33, v24                                // 0000000045C4: 68303121
	s_and_b32 s60, 1, s47                                      // 0000000045C8: 863C2F81
	s_mul_i32 s60, s60, 64                                     // 0000000045CC: 923CC03C
	s_lshr_b32 s61, s47, 1                                     // 0000000045D0: 8F3D812F
	s_mul_i32 s61, s61, 0x120                                  // 0000000045D4: 923DFF3D 00000120
	s_add_u32 s60, s60, s61                                    // 0000000045DC: 803C3D3C
	v_add_u32_e32 v24, s60, v24                                // 0000000045E0: 6830303C
	v_lshlrev_b32_e32 v24, 2, v24                              // 0000000045E4: 24303082
	buffer_load_dword v178, v1, s[12:15], 0 idxen              // 0000000045E8: E0502000 8003B201
	buffer_load_dword v179, v2, s[12:15], 0 idxen              // 0000000045F0: E0502000 8003B302
	s_mul_i32 s60, 16, s7                                      // 0000000045F8: 923C0790
	s_cmp_lt_i32 0, s73                                        // 0000000045FC: BF044980
	s_cselect_b32 s60, s60, 0                                  // 000000004600: 853C803C
	s_add_u32 s12, s60, s12                                    // 000000004604: 800C0C3C
	s_addc_u32 s13, 0, s13                                     // 000000004608: 820D0D80
	buffer_load_dword v180, v1, s[12:15], 0 idxen              // 00000000460C: E0502000 8003B401
	buffer_load_dword v181, v2, s[12:15], 0 idxen              // 000000004614: E0502000 8003B502
	s_mul_i32 s60, 16, s7                                      // 00000000461C: 923C0790
	s_cmp_lt_i32 0, s73                                        // 000000004620: BF044980
	s_cselect_b32 s60, s60, 0                                  // 000000004624: 853C803C
	s_add_u32 s12, s60, s12                                    // 000000004628: 800C0C3C
	s_addc_u32 s13, 0, s13                                     // 00000000462C: 820D0D80
	buffer_load_dword v182, v1, s[12:15], 0 idxen              // 000000004630: E0502000 8003B601
	buffer_load_dword v183, v2, s[12:15], 0 idxen              // 000000004638: E0502000 8003B702
	s_mul_i32 s60, 16, s7                                      // 000000004640: 923C0790
	s_cmp_lt_i32 0, s73                                        // 000000004644: BF044980
	s_cselect_b32 s60, s60, 0                                  // 000000004648: 853C803C
	s_add_u32 s12, s60, s12                                    // 00000000464C: 800C0C3C
	s_addc_u32 s13, 0, s13                                     // 000000004650: 820D0D80
	buffer_load_dword v184, v1, s[12:15], 0 idxen              // 000000004654: E0502000 8003B801
	buffer_load_dword v185, v2, s[12:15], 0 idxen              // 00000000465C: E0502000 8003B902
	s_mul_i32 s60, 16, s7                                      // 000000004664: 923C0790
	s_cmp_lt_i32 1, s73                                        // 000000004668: BF044981
	s_cselect_b32 s60, s60, 0                                  // 00000000466C: 853C803C
	s_add_u32 s12, s60, s12                                    // 000000004670: 800C0C3C
	s_addc_u32 s13, 0, s13                                     // 000000004674: 820D0D80
	buffer_load_dword v186, v1, s[12:15], 0 idxen              // 000000004678: E0502000 8003BA01
	buffer_load_dword v187, v2, s[12:15], 0 idxen              // 000000004680: E0502000 8003BB02
	s_mul_i32 s60, 16, s7                                      // 000000004688: 923C0790
	s_cmp_lt_i32 1, s73                                        // 00000000468C: BF044981
	s_cselect_b32 s60, s60, 0                                  // 000000004690: 853C803C
	s_add_u32 s12, s60, s12                                    // 000000004694: 800C0C3C
	s_addc_u32 s13, 0, s13                                     // 000000004698: 820D0D80
	buffer_load_dword v188, v1, s[12:15], 0 idxen              // 00000000469C: E0502000 8003BC01
	buffer_load_dword v189, v2, s[12:15], 0 idxen              // 0000000046A4: E0502000 8003BD02
	s_mul_i32 s60, 16, s7                                      // 0000000046AC: 923C0790
	s_cmp_lt_i32 1, s73                                        // 0000000046B0: BF044981
	s_cselect_b32 s60, s60, 0                                  // 0000000046B4: 853C803C
	s_add_u32 s12, s60, s12                                    // 0000000046B8: 800C0C3C
	s_addc_u32 s13, 0, s13                                     // 0000000046BC: 820D0D80
	buffer_load_dword v190, v1, s[12:15], 0 idxen              // 0000000046C0: E0502000 8003BE01
	buffer_load_dword v191, v2, s[12:15], 0 idxen              // 0000000046C8: E0502000 8003BF02
	s_mul_i32 s60, 16, s7                                      // 0000000046D0: 923C0790
	s_cmp_lt_i32 1, s73                                        // 0000000046D4: BF044981
	s_cselect_b32 s60, s60, 0                                  // 0000000046D8: 853C803C
	s_add_u32 s12, s60, s12                                    // 0000000046DC: 800C0C3C
	s_addc_u32 s13, 0, s13                                     // 0000000046E0: 820D0D80
	buffer_load_dword v192, v1, s[12:15], 0 idxen              // 0000000046E4: E0502000 8003C001
	buffer_load_dword v193, v2, s[12:15], 0 idxen              // 0000000046EC: E0502000 8003C102
	s_mul_i32 s60, 16, s7                                      // 0000000046F4: 923C0790
	s_cmp_lt_i32 2, s73                                        // 0000000046F8: BF044982
	s_cselect_b32 s60, s60, 0                                  // 0000000046FC: 853C803C
	s_add_u32 s12, s60, s12                                    // 000000004700: 800C0C3C
	s_addc_u32 s13, 0, s13                                     // 000000004704: 820D0D80
	buffer_load_dword v194, v1, s[12:15], 0 idxen              // 000000004708: E0502000 8003C201
	buffer_load_dword v195, v2, s[12:15], 0 idxen              // 000000004710: E0502000 8003C302
	s_mul_i32 s60, 16, s7                                      // 000000004718: 923C0790
	s_cmp_lt_i32 2, s73                                        // 00000000471C: BF044982
	s_cselect_b32 s60, s60, 0                                  // 000000004720: 853C803C
	s_add_u32 s12, s60, s12                                    // 000000004724: 800C0C3C
	s_addc_u32 s13, 0, s13                                     // 000000004728: 820D0D80
	buffer_load_dword v196, v1, s[12:15], 0 idxen              // 00000000472C: E0502000 8003C401
	buffer_load_dword v197, v2, s[12:15], 0 idxen              // 000000004734: E0502000 8003C502
	s_mul_i32 s60, 16, s7                                      // 00000000473C: 923C0790
	s_cmp_lt_i32 2, s73                                        // 000000004740: BF044982
	s_cselect_b32 s60, s60, 0                                  // 000000004744: 853C803C
	s_add_u32 s12, s60, s12                                    // 000000004748: 800C0C3C
	s_addc_u32 s13, 0, s13                                     // 00000000474C: 820D0D80
	buffer_load_dword v198, v1, s[12:15], 0 idxen              // 000000004750: E0502000 8003C601
	buffer_load_dword v199, v2, s[12:15], 0 idxen              // 000000004758: E0502000 8003C702
	s_mul_i32 s60, 16, s7                                      // 000000004760: 923C0790
	s_cmp_lt_i32 2, s73                                        // 000000004764: BF044982
	s_cselect_b32 s60, s60, 0                                  // 000000004768: 853C803C
	s_add_u32 s12, s60, s12                                    // 00000000476C: 800C0C3C
	s_addc_u32 s13, 0, s13                                     // 000000004770: 820D0D80
	buffer_load_dword v200, v1, s[12:15], 0 idxen              // 000000004774: E0502000 8003C801
	buffer_load_dword v201, v2, s[12:15], 0 idxen              // 00000000477C: E0502000 8003C902
	s_mul_i32 s60, 16, s7                                      // 000000004784: 923C0790
	s_cmp_lt_i32 3, s73                                        // 000000004788: BF044983
	s_cselect_b32 s60, s60, 0                                  // 00000000478C: 853C803C
	s_add_u32 s12, s60, s12                                    // 000000004790: 800C0C3C
	s_addc_u32 s13, 0, s13                                     // 000000004794: 820D0D80
	s_waitcnt vmcnt(16) lgkmcnt(0)                             // 000000004798: BF8C4070
	s_barrier                                                  // 00000000479C: BF8A0000
	s_cmp_lt_i32 0, s73                                        // 0000000047A0: BF044980
	s_cbranch_scc1 label_0272                                  // 0000000047A4: BF850008
	v_mov_b32_e32 v178, 0                                      // 0000000047A8: 7F640280
	v_mov_b32_e32 v179, 0                                      // 0000000047AC: 7F660280
	v_mov_b32_e32 v180, 0                                      // 0000000047B0: 7F680280
	v_mov_b32_e32 v181, 0                                      // 0000000047B4: 7F6A0280
	v_mov_b32_e32 v182, 0                                      // 0000000047B8: 7F6C0280
	v_mov_b32_e32 v183, 0                                      // 0000000047BC: 7F6E0280
	v_mov_b32_e32 v184, 0                                      // 0000000047C0: 7F700280
	v_mov_b32_e32 v185, 0                                      // 0000000047C4: 7F720280

00000000000047c8 <label_0272>:
	v_perm_b32 v202, v179, v178, s63                           // 0000000047C8: D1ED00CA 00FF65B3
	v_perm_b32 v203, v179, v178, s64                           // 0000000047D0: D1ED00CB 010365B3
	v_perm_b32 v204, v181, v180, s63                           // 0000000047D8: D1ED00CC 00FF69B5
	v_perm_b32 v205, v181, v180, s64                           // 0000000047E0: D1ED00CD 010369B5
	v_perm_b32 v206, v183, v182, s63                           // 0000000047E8: D1ED00CE 00FF6DB7
	v_perm_b32 v207, v183, v182, s64                           // 0000000047F0: D1ED00CF 01036DB7
	v_perm_b32 v208, v185, v184, s63                           // 0000000047F8: D1ED00D0 00FF71B9
	v_perm_b32 v209, v185, v184, s64                           // 000000004800: D1ED00D1 010371B9
	ds_write_b32 v19, v202 offset:8704                         // 000000004808: D81A2200 0000CA13
	ds_write_b32 v19, v203 offset:9760                         // 000000004810: D81A2620 0000CB13
	ds_write_b32 v19, v204 offset:10880                        // 000000004818: D81A2A80 0000CC13
	ds_write_b32 v19, v205 offset:11936                        // 000000004820: D81A2EA0 0000CD13
	ds_write_b32 v19, v206 offset:13056                        // 000000004828: D81A3300 0000CE13
	ds_write_b32 v19, v207 offset:14112                        // 000000004830: D81A3720 0000CF13
	ds_write_b32 v19, v208 offset:15232                        // 000000004838: D81A3B80 0000D013
	ds_write_b32 v19, v209 offset:16288                        // 000000004840: D81A3FA0 0000D113
	ds_write_b32 v17, v178                                     // 000000004848: D81A0000 0000B211
	ds_write_b32 v17, v179 offset:1056                         // 000000004850: D81A0420 0000B311
	ds_write_b32 v17, v180 offset:2176                         // 000000004858: D81A0880 0000B411
	ds_write_b32 v17, v181 offset:3232                         // 000000004860: D81A0CA0 0000B511
	ds_write_b32 v17, v182 offset:4352                         // 000000004868: D81A1100 0000B611
	ds_write_b32 v17, v183 offset:5408                         // 000000004870: D81A1520 0000B711
	ds_write_b32 v17, v184 offset:6528                         // 000000004878: D81A1980 0000B811
	ds_write_b32 v17, v185 offset:7584                         // 000000004880: D81A1DA0 0000B911
	buffer_load_dword v178, v1, s[16:19], 0 idxen              // 000000004888: E0502000 8004B201
	buffer_load_dword v179, v2, s[16:19], 0 idxen              // 000000004890: E0502000 8004B302
	s_mul_i32 s60, 16, s7                                      // 000000004898: 923C0790
	s_cmp_lt_i32 0, s73                                        // 00000000489C: BF044980
	s_cselect_b32 s60, s60, 0                                  // 0000000048A0: 853C803C
	s_add_u32 s16, s60, s16                                    // 0000000048A4: 8010103C
	s_addc_u32 s17, 0, s17                                     // 0000000048A8: 82111180
	buffer_load_dword v180, v1, s[16:19], 0 idxen              // 0000000048AC: E0502000 8004B401
	buffer_load_dword v181, v2, s[16:19], 0 idxen              // 0000000048B4: E0502000 8004B502
	s_mul_i32 s60, 16, s7                                      // 0000000048BC: 923C0790
	s_cmp_lt_i32 0, s73                                        // 0000000048C0: BF044980
	s_cselect_b32 s60, s60, 0                                  // 0000000048C4: 853C803C
	s_add_u32 s16, s60, s16                                    // 0000000048C8: 8010103C
	s_addc_u32 s17, 0, s17                                     // 0000000048CC: 82111180
	buffer_load_dword v182, v1, s[16:19], 0 idxen              // 0000000048D0: E0502000 8004B601
	buffer_load_dword v183, v2, s[16:19], 0 idxen              // 0000000048D8: E0502000 8004B702
	s_mul_i32 s60, 16, s7                                      // 0000000048E0: 923C0790
	s_cmp_lt_i32 0, s73                                        // 0000000048E4: BF044980
	s_cselect_b32 s60, s60, 0                                  // 0000000048E8: 853C803C
	s_add_u32 s16, s60, s16                                    // 0000000048EC: 8010103C
	s_addc_u32 s17, 0, s17                                     // 0000000048F0: 82111180
	buffer_load_dword v184, v1, s[16:19], 0 idxen              // 0000000048F4: E0502000 8004B801
	buffer_load_dword v185, v2, s[16:19], 0 idxen              // 0000000048FC: E0502000 8004B902
	s_mul_i32 s60, 16, s7                                      // 000000004904: 923C0790
	s_cmp_lt_i32 1, s73                                        // 000000004908: BF044981
	s_cselect_b32 s60, s60, 0                                  // 00000000490C: 853C803C
	s_add_u32 s16, s60, s16                                    // 000000004910: 8010103C
	s_addc_u32 s17, 0, s17                                     // 000000004914: 82111180
	s_waitcnt lgkmcnt(0)                                       // 000000004918: BF8CC07F
	s_barrier                                                  // 00000000491C: BF8A0000
	ds_read_b128 a[24:27], v29 offset:8704                     // 000000004920: DBFE2200 1800001D
	ds_read_b128 a[28:31], v29 offset:8960                     // 000000004928: DBFE2300 1C00001D
	ds_read_b128 a[32:35], v29 offset:13056                    // 000000004930: DBFE3300 2000001D
	ds_read_b128 a[36:39], v29 offset:13312                    // 000000004938: DBFE3400 2400001D
	ds_read_b128 a[0:3], v28                                   // 000000004940: DBFE0000 0000001C
	ds_read_b128 a[4:7], v28 offset:512                        // 000000004948: DBFE0200 0400001C
	s_waitcnt vmcnt(16) lgkmcnt(0)                             // 000000004950: BF8C4070
	s_barrier                                                  // 000000004954: BF8A0000
	s_cmp_lt_i32 1, s73                                        // 000000004958: BF044981
	s_cbranch_scc1 label_02E0                                  // 00000000495C: BF850008
	v_mov_b32_e32 v186, 0                                      // 000000004960: 7F740280
	v_mov_b32_e32 v187, 0                                      // 000000004964: 7F760280
	v_mov_b32_e32 v188, 0                                      // 000000004968: 7F780280
	v_mov_b32_e32 v189, 0                                      // 00000000496C: 7F7A0280
	v_mov_b32_e32 v190, 0                                      // 000000004970: 7F7C0280
	v_mov_b32_e32 v191, 0                                      // 000000004974: 7F7E0280
	v_mov_b32_e32 v192, 0                                      // 000000004978: 7F800280
	v_mov_b32_e32 v193, 0                                      // 00000000497C: 7F820280

0000000000004980 <label_02E0>:
	v_perm_b32 v202, v187, v186, s63                           // 000000004980: D1ED00CA 00FF75BB
	v_perm_b32 v203, v187, v186, s64                           // 000000004988: D1ED00CB 010375BB
	v_perm_b32 v204, v189, v188, s63                           // 000000004990: D1ED00CC 00FF79BD
	v_perm_b32 v205, v189, v188, s64                           // 000000004998: D1ED00CD 010379BD
	v_perm_b32 v206, v191, v190, s63                           // 0000000049A0: D1ED00CE 00FF7DBF
	v_perm_b32 v207, v191, v190, s64                           // 0000000049A8: D1ED00CF 01037DBF
	v_perm_b32 v208, v193, v192, s63                           // 0000000049B0: D1ED00D0 00FF81C1
	v_perm_b32 v209, v193, v192, s64                           // 0000000049B8: D1ED00D1 010381C1
	ds_write_b32 v19, v202 offset:8704                         // 0000000049C0: D81A2200 0000CA13
	ds_write_b32 v19, v203 offset:9760                         // 0000000049C8: D81A2620 0000CB13
	ds_write_b32 v19, v204 offset:10880                        // 0000000049D0: D81A2A80 0000CC13
	ds_write_b32 v19, v205 offset:11936                        // 0000000049D8: D81A2EA0 0000CD13
	ds_write_b32 v19, v206 offset:13056                        // 0000000049E0: D81A3300 0000CE13
	ds_write_b32 v19, v207 offset:14112                        // 0000000049E8: D81A3720 0000CF13
	ds_write_b32 v19, v208 offset:15232                        // 0000000049F0: D81A3B80 0000D013
	ds_write_b32 v19, v209 offset:16288                        // 0000000049F8: D81A3FA0 0000D113
	ds_write_b32 v17, v186                                     // 000000004A00: D81A0000 0000BA11
	ds_write_b32 v17, v187 offset:1056                         // 000000004A08: D81A0420 0000BB11
	ds_write_b32 v17, v188 offset:2176                         // 000000004A10: D81A0880 0000BC11
	ds_write_b32 v17, v189 offset:3232                         // 000000004A18: D81A0CA0 0000BD11
	ds_write_b32 v17, v190 offset:4352                         // 000000004A20: D81A1100 0000BE11
	ds_write_b32 v17, v191 offset:5408                         // 000000004A28: D81A1520 0000BF11
	ds_write_b32 v17, v192 offset:6528                         // 000000004A30: D81A1980 0000C011
	ds_write_b32 v17, v193 offset:7584                         // 000000004A38: D81A1DA0 0000C111
	buffer_load_dword v186, v1, s[16:19], 0 idxen              // 000000004A40: E0502000 8004BA01
	buffer_load_dword v187, v2, s[16:19], 0 idxen              // 000000004A48: E0502000 8004BB02
	s_mul_i32 s60, 16, s7                                      // 000000004A50: 923C0790
	s_cmp_lt_i32 1, s73                                        // 000000004A54: BF044981
	s_cselect_b32 s60, s60, 0                                  // 000000004A58: 853C803C
	s_add_u32 s16, s60, s16                                    // 000000004A5C: 8010103C
	s_addc_u32 s17, 0, s17                                     // 000000004A60: 82111180
	buffer_load_dword v188, v1, s[16:19], 0 idxen              // 000000004A64: E0502000 8004BC01
	buffer_load_dword v189, v2, s[16:19], 0 idxen              // 000000004A6C: E0502000 8004BD02
	s_mul_i32 s60, 16, s7                                      // 000000004A74: 923C0790
	s_cmp_lt_i32 1, s73                                        // 000000004A78: BF044981
	s_cselect_b32 s60, s60, 0                                  // 000000004A7C: 853C803C
	s_add_u32 s16, s60, s16                                    // 000000004A80: 8010103C
	s_addc_u32 s17, 0, s17                                     // 000000004A84: 82111180
	buffer_load_dword v190, v1, s[16:19], 0 idxen              // 000000004A88: E0502000 8004BE01
	buffer_load_dword v191, v2, s[16:19], 0 idxen              // 000000004A90: E0502000 8004BF02
	s_mul_i32 s60, 16, s7                                      // 000000004A98: 923C0790
	s_cmp_lt_i32 1, s73                                        // 000000004A9C: BF044981
	s_cselect_b32 s60, s60, 0                                  // 000000004AA0: 853C803C
	s_add_u32 s16, s60, s16                                    // 000000004AA4: 8010103C
	s_addc_u32 s17, 0, s17                                     // 000000004AA8: 82111180
	buffer_load_dword v192, v1, s[16:19], 0 idxen              // 000000004AAC: E0502000 8004C001
	buffer_load_dword v193, v2, s[16:19], 0 idxen              // 000000004AB4: E0502000 8004C102
	s_mul_i32 s60, 16, s7                                      // 000000004ABC: 923C0790
	s_cmp_lt_i32 2, s73                                        // 000000004AC0: BF044982
	s_cselect_b32 s60, s60, 0                                  // 000000004AC4: 853C803C
	s_add_u32 s16, s60, s16                                    // 000000004AC8: 8010103C
	s_addc_u32 s17, 0, s17                                     // 000000004ACC: 82111180
	s_waitcnt lgkmcnt(0)                                       // 000000004AD0: BF8CC07F
	s_barrier                                                  // 000000004AD4: BF8A0000
	ds_read_b128 a[40:43], v29 offset:8704                     // 000000004AD8: DBFE2200 2800001D
	ds_read_b128 a[44:47], v29 offset:8960                     // 000000004AE0: DBFE2300 2C00001D
	ds_read_b128 a[48:51], v29 offset:13056                    // 000000004AE8: DBFE3300 3000001D
	ds_read_b128 a[52:55], v29 offset:13312                    // 000000004AF0: DBFE3400 3400001D
	ds_read_b128 a[8:11], v28                                  // 000000004AF8: DBFE0000 0800001C
	ds_read_b128 a[12:15], v28 offset:512                      // 000000004B00: DBFE0200 0C00001C
	s_waitcnt vmcnt(16) lgkmcnt(0)                             // 000000004B08: BF8C4070
	s_barrier                                                  // 000000004B0C: BF8A0000
	s_cmp_lt_i32 2, s73                                        // 000000004B10: BF044982
	s_cbranch_scc1 label_034E                                  // 000000004B14: BF850008
	v_mov_b32_e32 v194, 0                                      // 000000004B18: 7F840280
	v_mov_b32_e32 v195, 0                                      // 000000004B1C: 7F860280
	v_mov_b32_e32 v196, 0                                      // 000000004B20: 7F880280
	v_mov_b32_e32 v197, 0                                      // 000000004B24: 7F8A0280
	v_mov_b32_e32 v198, 0                                      // 000000004B28: 7F8C0280
	v_mov_b32_e32 v199, 0                                      // 000000004B2C: 7F8E0280
	v_mov_b32_e32 v200, 0                                      // 000000004B30: 7F900280
	v_mov_b32_e32 v201, 0                                      // 000000004B34: 7F920280

0000000000004b38 <label_034E>:
	v_perm_b32 v202, v195, v194, s63                           // 000000004B38: D1ED00CA 00FF85C3
	v_perm_b32 v203, v195, v194, s64                           // 000000004B40: D1ED00CB 010385C3
	v_perm_b32 v204, v197, v196, s63                           // 000000004B48: D1ED00CC 00FF89C5
	v_perm_b32 v205, v197, v196, s64                           // 000000004B50: D1ED00CD 010389C5
	v_perm_b32 v206, v199, v198, s63                           // 000000004B58: D1ED00CE 00FF8DC7
	v_perm_b32 v207, v199, v198, s64                           // 000000004B60: D1ED00CF 01038DC7
	v_perm_b32 v208, v201, v200, s63                           // 000000004B68: D1ED00D0 00FF91C9
	v_perm_b32 v209, v201, v200, s64                           // 000000004B70: D1ED00D1 010391C9
	ds_write_b32 v19, v202 offset:8704                         // 000000004B78: D81A2200 0000CA13
	ds_write_b32 v19, v203 offset:9760                         // 000000004B80: D81A2620 0000CB13
	ds_write_b32 v19, v204 offset:10880                        // 000000004B88: D81A2A80 0000CC13
	ds_write_b32 v19, v205 offset:11936                        // 000000004B90: D81A2EA0 0000CD13
	ds_write_b32 v19, v206 offset:13056                        // 000000004B98: D81A3300 0000CE13
	ds_write_b32 v19, v207 offset:14112                        // 000000004BA0: D81A3720 0000CF13
	ds_write_b32 v19, v208 offset:15232                        // 000000004BA8: D81A3B80 0000D013
	ds_write_b32 v19, v209 offset:16288                        // 000000004BB0: D81A3FA0 0000D113
	ds_write_b32 v17, v194                                     // 000000004BB8: D81A0000 0000C211
	ds_write_b32 v17, v195 offset:1056                         // 000000004BC0: D81A0420 0000C311
	ds_write_b32 v17, v196 offset:2176                         // 000000004BC8: D81A0880 0000C411
	ds_write_b32 v17, v197 offset:3232                         // 000000004BD0: D81A0CA0 0000C511
	ds_write_b32 v17, v198 offset:4352                         // 000000004BD8: D81A1100 0000C611
	ds_write_b32 v17, v199 offset:5408                         // 000000004BE0: D81A1520 0000C711
	ds_write_b32 v17, v200 offset:6528                         // 000000004BE8: D81A1980 0000C811
	ds_write_b32 v17, v201 offset:7584                         // 000000004BF0: D81A1DA0 0000C911
	buffer_load_dword v194, v1, s[16:19], 0 idxen              // 000000004BF8: E0502000 8004C201
	buffer_load_dword v195, v2, s[16:19], 0 idxen              // 000000004C00: E0502000 8004C302
	s_mul_i32 s60, 16, s7                                      // 000000004C08: 923C0790
	s_cmp_lt_i32 2, s73                                        // 000000004C0C: BF044982
	s_cselect_b32 s60, s60, 0                                  // 000000004C10: 853C803C
	s_add_u32 s16, s60, s16                                    // 000000004C14: 8010103C
	s_addc_u32 s17, 0, s17                                     // 000000004C18: 82111180
	buffer_load_dword v196, v1, s[16:19], 0 idxen              // 000000004C1C: E0502000 8004C401
	buffer_load_dword v197, v2, s[16:19], 0 idxen              // 000000004C24: E0502000 8004C502
	s_mul_i32 s60, 16, s7                                      // 000000004C2C: 923C0790
	s_cmp_lt_i32 2, s73                                        // 000000004C30: BF044982
	s_cselect_b32 s60, s60, 0                                  // 000000004C34: 853C803C
	s_add_u32 s16, s60, s16                                    // 000000004C38: 8010103C
	s_addc_u32 s17, 0, s17                                     // 000000004C3C: 82111180
	buffer_load_dword v198, v1, s[16:19], 0 idxen              // 000000004C40: E0502000 8004C601
	buffer_load_dword v199, v2, s[16:19], 0 idxen              // 000000004C48: E0502000 8004C702
	s_mul_i32 s60, 16, s7                                      // 000000004C50: 923C0790
	s_cmp_lt_i32 2, s73                                        // 000000004C54: BF044982
	s_cselect_b32 s60, s60, 0                                  // 000000004C58: 853C803C
	s_add_u32 s16, s60, s16                                    // 000000004C5C: 8010103C
	s_addc_u32 s17, 0, s17                                     // 000000004C60: 82111180
	buffer_load_dword v200, v1, s[16:19], 0 idxen              // 000000004C64: E0502000 8004C801
	buffer_load_dword v201, v2, s[16:19], 0 idxen              // 000000004C6C: E0502000 8004C902
	s_mul_i32 s60, 16, s7                                      // 000000004C74: 923C0790
	s_cmp_lt_i32 3, s73                                        // 000000004C78: BF044983
	s_cselect_b32 s60, s60, 0                                  // 000000004C7C: 853C803C
	s_add_u32 s16, s60, s16                                    // 000000004C80: 8010103C
	s_addc_u32 s17, 0, s17                                     // 000000004C84: 82111180
	s_waitcnt lgkmcnt(0)                                       // 000000004C88: BF8CC07F
	s_barrier                                                  // 000000004C8C: BF8A0000
	ds_read_b128 a[56:59], v29 offset:8704                     // 000000004C90: DBFE2200 3800001D
	ds_read_b128 a[60:63], v29 offset:8960                     // 000000004C98: DBFE2300 3C00001D
	ds_read_b128 a[64:67], v29 offset:13056                    // 000000004CA0: DBFE3300 4000001D
	ds_read_b128 a[68:71], v29 offset:13312                    // 000000004CA8: DBFE3400 4400001D
	ds_read_b128 a[16:19], v28                                 // 000000004CB0: DBFE0000 1000001C
	ds_read_b128 a[20:23], v28 offset:512                      // 000000004CB8: DBFE0200 1400001C
	s_waitcnt vmcnt(16) lgkmcnt(0)                             // 000000004CC0: BF8C4070
	s_barrier                                                  // 000000004CC4: BF8A0000
	s_cmp_lt_i32 0, s73                                        // 000000004CC8: BF044980
	s_cbranch_scc1 label_03BC                                  // 000000004CCC: BF850008
	v_mov_b32_e32 v178, 0                                      // 000000004CD0: 7F640280
	v_mov_b32_e32 v179, 0                                      // 000000004CD4: 7F660280
	v_mov_b32_e32 v180, 0                                      // 000000004CD8: 7F680280
	v_mov_b32_e32 v181, 0                                      // 000000004CDC: 7F6A0280
	v_mov_b32_e32 v182, 0                                      // 000000004CE0: 7F6C0280
	v_mov_b32_e32 v183, 0                                      // 000000004CE4: 7F6E0280
	v_mov_b32_e32 v184, 0                                      // 000000004CE8: 7F700280
	v_mov_b32_e32 v185, 0                                      // 000000004CEC: 7F720280

0000000000004cf0 <label_03BC>:
	ds_write_b32 v17, v178                                     // 000000004CF0: D81A0000 0000B211
	ds_write_b32 v17, v179 offset:1056                         // 000000004CF8: D81A0420 0000B311
	ds_write_b32 v17, v180 offset:2176                         // 000000004D00: D81A0880 0000B411
	ds_write_b32 v17, v181 offset:3232                         // 000000004D08: D81A0CA0 0000B511
	ds_write_b32 v17, v182 offset:4352                         // 000000004D10: D81A1100 0000B611
	ds_write_b32 v17, v183 offset:5408                         // 000000004D18: D81A1520 0000B711
	ds_write_b32 v17, v184 offset:6528                         // 000000004D20: D81A1980 0000B811
	ds_write_b32 v17, v185 offset:7584                         // 000000004D28: D81A1DA0 0000B911
	s_mov_b32 s71, s70                                         // 000000004D30: BEC70046
	v_lshrrev_b32_e32 v32, 4, v0                               // 000000004D34: 20400084
	v_and_b32_e32 v33, 1, v32                                  // 000000004D38: 26424081
	v_lshlrev_b32_e32 v33, 1, v33                              // 000000004D3C: 24424281
	v_mul_i32_i24_e32 v33, s71, v33                            // 000000004D40: 0C424247
	v_and_b32_e32 v34, 2, v32                                  // 000000004D44: 26444082
	v_lshlrev_b32_e32 v34, 5, v34                              // 000000004D48: 24444485
	v_add_u32_e32 v33, v34, v33                                // 000000004D4C: 68424322
	v_and_b32_e32 v32, 15, v0                                  // 000000004D50: 2640008F
	v_lshlrev_b32_e32 v32, 2, v32                              // 000000004D54: 24404082
	v_add_u32_e32 v1, v32, v33                                 // 000000004D58: 68024320
	s_mul_i32 s60, s47, s71                                    // 000000004D5C: 923C472F
	s_mul_i32 s60, s60, 4                                      // 000000004D60: 923C843C
	v_add_u32_e32 v1, s60, v1                                  // 000000004D64: 6802023C
	v_add_u32_e32 v2, s71, v1                                  // 000000004D68: 68040247
	s_mul_i32 s60, 16, s71                                     // 000000004D6C: 923C4790
	v_add_u32_e32 v3, s60, v1                                  // 000000004D70: 6806023C
	v_add_u32_e32 v4, s60, v2                                  // 000000004D74: 6808043C
	v_lshrrev_b32_e32 v1, 2, v1                                // 000000004D78: 20020282
	v_lshrrev_b32_e32 v2, 2, v2                                // 000000004D7C: 20040482
	v_lshrrev_b32_e32 v3, 2, v3                                // 000000004D80: 20060682
	v_lshrrev_b32_e32 v4, 2, v4                                // 000000004D84: 20080882
	buffer_load_dword v36, v1, s[8:11], 0 idxen                // 000000004D88: E0502000 80022401
	buffer_load_dword v37, v2, s[8:11], 0 idxen                // 000000004D90: E0502000 80022502
	buffer_load_dword v38, v3, s[8:11], 0 idxen                // 000000004D98: E0502000 80022603
	buffer_load_dword v39, v4, s[8:11], 0 idxen                // 000000004DA0: E0502000 80022704
	buffer_load_dword v44, v1, s[20:23], 0 idxen               // 000000004DA8: E0502000 80052C01
	buffer_load_dword v45, v2, s[20:23], 0 idxen               // 000000004DB0: E0502000 80052D02
	buffer_load_dword v46, v3, s[20:23], 0 idxen               // 000000004DB8: E0502000 80052E03
	buffer_load_dword v47, v4, s[20:23], 0 idxen               // 000000004DC0: E0502000 80052F04
	s_waitcnt lgkmcnt(0)                                       // 000000004DC8: BF8CC07F
	s_barrier                                                  // 000000004DCC: BF8A0000
	ds_read_b128 a[72:75], v28                                 // 000000004DD0: DBFE0000 4800001C
	ds_read_b128 a[76:79], v28 offset:512                      // 000000004DD8: DBFE0200 4C00001C
	s_add_u32 s8, s68, s8                                      // 000000004DE0: 80080844
	s_addc_u32 s9, 0, s9                                       // 000000004DE4: 82090980
	s_add_u32 s20, s68, s20                                    // 000000004DE8: 80141444
	s_addc_u32 s21, 0, s21                                     // 000000004DEC: 82151580
	s_waitcnt vmcnt(16) lgkmcnt(0)                             // 000000004DF0: BF8C4070
	s_barrier                                                  // 000000004DF4: BF8A0000
	s_cmp_lt_i32 1, s73                                        // 000000004DF8: BF044981
	s_cbranch_scc1 label_0408                                  // 000000004DFC: BF850008
	v_mov_b32_e32 v186, 0                                      // 000000004E00: 7F740280
	v_mov_b32_e32 v187, 0                                      // 000000004E04: 7F760280
	v_mov_b32_e32 v188, 0                                      // 000000004E08: 7F780280
	v_mov_b32_e32 v189, 0                                      // 000000004E0C: 7F7A0280
	v_mov_b32_e32 v190, 0                                      // 000000004E10: 7F7C0280
	v_mov_b32_e32 v191, 0                                      // 000000004E14: 7F7E0280
	v_mov_b32_e32 v192, 0                                      // 000000004E18: 7F800280
	v_mov_b32_e32 v193, 0                                      // 000000004E1C: 7F820280

0000000000004e20 <label_0408>:
	ds_write_b32 v17, v186                                     // 000000004E20: D81A0000 0000BA11
	ds_write_b32 v17, v187 offset:1056                         // 000000004E28: D81A0420 0000BB11
	ds_write_b32 v17, v188 offset:2176                         // 000000004E30: D81A0880 0000BC11
	ds_write_b32 v17, v189 offset:3232                         // 000000004E38: D81A0CA0 0000BD11
	ds_write_b32 v17, v190 offset:4352                         // 000000004E40: D81A1100 0000BE11
	ds_write_b32 v17, v191 offset:5408                         // 000000004E48: D81A1520 0000BF11
	ds_write_b32 v17, v192 offset:6528                         // 000000004E50: D81A1980 0000C011
	ds_write_b32 v17, v193 offset:7584                         // 000000004E58: D81A1DA0 0000C111
	buffer_load_dword v40, v1, s[8:11], 0 idxen                // 000000004E60: E0502000 80022801
	buffer_load_dword v41, v2, s[8:11], 0 idxen                // 000000004E68: E0502000 80022902
	buffer_load_dword v42, v3, s[8:11], 0 idxen                // 000000004E70: E0502000 80022A03
	buffer_load_dword v43, v4, s[8:11], 0 idxen                // 000000004E78: E0502000 80022B04
	buffer_load_dword v48, v1, s[20:23], 0 idxen               // 000000004E80: E0502000 80053001
	buffer_load_dword v49, v2, s[20:23], 0 idxen               // 000000004E88: E0502000 80053102
	buffer_load_dword v50, v3, s[20:23], 0 idxen               // 000000004E90: E0502000 80053203
	buffer_load_dword v51, v4, s[20:23], 0 idxen               // 000000004E98: E0502000 80053304
	s_waitcnt lgkmcnt(0)                                       // 000000004EA0: BF8CC07F
	s_barrier                                                  // 000000004EA4: BF8A0000
	ds_read_b128 a[80:83], v28                                 // 000000004EA8: DBFE0000 5000001C
	ds_read_b128 a[84:87], v28 offset:512                      // 000000004EB0: DBFE0200 5400001C
	s_add_u32 s60, 64, s59                                     // 000000004EB8: 803C3BC0
	s_cmp_lt_u32 s60, s58                                      // 000000004EBC: BF0A3A3C
	s_cselect_b32 s68, s68, 0                                  // 000000004EC0: 85448044
	s_add_u32 s8, s68, s8                                      // 000000004EC4: 80080844
	s_addc_u32 s9, 0, s9                                       // 000000004EC8: 82090980
	s_add_u32 s20, s68, s20                                    // 000000004ECC: 80141444
	s_addc_u32 s21, 0, s21                                     // 000000004ED0: 82151580
	s_waitcnt vmcnt(16) lgkmcnt(0)                             // 000000004ED4: BF8C4070
	s_barrier                                                  // 000000004ED8: BF8A0000
	s_cmp_lt_i32 2, s73                                        // 000000004EDC: BF044982
	s_cbranch_scc1 label_0441                                  // 000000004EE0: BF850008
	v_mov_b32_e32 v194, 0                                      // 000000004EE4: 7F840280
	v_mov_b32_e32 v195, 0                                      // 000000004EE8: 7F860280
	v_mov_b32_e32 v196, 0                                      // 000000004EEC: 7F880280
	v_mov_b32_e32 v197, 0                                      // 000000004EF0: 7F8A0280
	v_mov_b32_e32 v198, 0                                      // 000000004EF4: 7F8C0280
	v_mov_b32_e32 v199, 0                                      // 000000004EF8: 7F8E0280
	v_mov_b32_e32 v200, 0                                      // 000000004EFC: 7F900280
	v_mov_b32_e32 v201, 0                                      // 000000004F00: 7F920280

0000000000004f04 <label_0441>:
	ds_write_b32 v17, v194                                     // 000000004F04: D81A0000 0000C211
	ds_write_b32 v17, v195 offset:1056                         // 000000004F0C: D81A0420 0000C311
	ds_write_b32 v17, v196 offset:2176                         // 000000004F14: D81A0880 0000C411
	ds_write_b32 v17, v197 offset:3232                         // 000000004F1C: D81A0CA0 0000C511
	ds_write_b32 v17, v198 offset:4352                         // 000000004F24: D81A1100 0000C611
	ds_write_b32 v17, v199 offset:5408                         // 000000004F2C: D81A1520 0000C711
	ds_write_b32 v17, v200 offset:6528                         // 000000004F34: D81A1980 0000C811
	ds_write_b32 v17, v201 offset:7584                         // 000000004F3C: D81A1DA0 0000C911
	s_waitcnt lgkmcnt(0)                                       // 000000004F44: BF8CC07F
	s_barrier                                                  // 000000004F48: BF8A0000
	ds_read_b128 a[88:91], v28                                 // 000000004F4C: DBFE0000 5800001C
	ds_read_b128 a[92:95], v28 offset:512                      // 000000004F54: DBFE0200 5C00001C
	s_waitcnt vmcnt(8) lgkmcnt(0)                              // 000000004F5C: BF8C0078
	s_barrier                                                  // 000000004F60: BF8A0000
	buffer_load_dword v15, s[24:27], 0 idxen lds               // 000000004F64: E0512000 8006000F
	s_mov_b32 m0, s77                                          // 000000004F6C: BEFC004D
	v_add_u32_e32 v15, s69, v15                                // 000000004F70: 681E1E45
	v_perm_b32 v100, v37, v36, s63                             // 000000004F74: D1ED0064 00FE4925
	v_perm_b32 v101, v37, v36, s64                             // 000000004F7C: D1ED0065 01024925
	v_perm_b32 v102, v39, v38, s63                             // 000000004F84: D1ED0066 00FE4D27
	v_perm_b32 v103, v39, v38, s64                             // 000000004F8C: D1ED0067 01024D27
	ds_write_b32 v19, v100 offset:4352                         // 000000004F94: D81A1100 00006413
	ds_write_b32 v19, v101 offset:5408                         // 000000004F9C: D81A1520 00006513
	ds_write_b32 v19, v102 offset:6528                         // 000000004FA4: D81A1980 00006613
	ds_write_b32 v19, v103 offset:7584                         // 000000004FAC: D81A1DA0 00006713
	ds_write_b32 v17, v36                                      // 000000004FB4: D81A0000 00002411
	ds_write_b32 v17, v37 offset:1056                          // 000000004FBC: D81A0420 00002511
	ds_write_b32 v17, v38 offset:2176                          // 000000004FC4: D81A0880 00002611
	ds_write_b32 v17, v39 offset:3232                          // 000000004FCC: D81A0CA0 00002711
	buffer_load_dword v15, s[24:27], 0 idxen lds               // 000000004FD4: E0512000 8006000F
	s_add_u32 s60, 64, s59                                     // 000000004FDC: 803C3BC0
	s_cmp_lt_u32 s60, s58                                      // 000000004FE0: BF0A3A3C
	s_cselect_b32 s69, s69, 0                                  // 000000004FE4: 85458045
	s_mov_b32 m0, s76                                          // 000000004FE8: BEFC004C
	v_add_u32_e32 v15, s69, v15                                // 000000004FEC: 681E1E45
	v_perm_b32 v104, v45, v44, s63                             // 000000004FF0: D1ED0068 00FE592D
	v_perm_b32 v105, v45, v44, s64                             // 000000004FF8: D1ED0069 0102592D
	v_perm_b32 v106, v47, v46, s63                             // 000000005000: D1ED006A 00FE5D2F
	v_perm_b32 v107, v47, v46, s64                             // 000000005008: D1ED006B 01025D2F
	ds_write_b32 v19, v104 offset:13056                        // 000000005010: D81A3300 00006813
	ds_write_b32 v19, v105 offset:14112                        // 000000005018: D81A3720 00006913
	ds_write_b32 v19, v106 offset:15232                        // 000000005020: D81A3B80 00006A13
	ds_write_b32 v19, v107 offset:16288                        // 000000005028: D81A3FA0 00006B13
	ds_write_b32 v17, v44 offset:8704                          // 000000005030: D81A2200 00002C11
	ds_write_b32 v17, v45 offset:9760                          // 000000005038: D81A2620 00002D11
	ds_write_b32 v17, v46 offset:10880                         // 000000005040: D81A2A80 00002E11
	ds_write_b32 v17, v47 offset:11936                         // 000000005048: D81A2EA0 00002F11
	s_waitcnt vmcnt(1) lgkmcnt(0)                              // 000000005050: BF8C0071
	s_barrier                                                  // 000000005054: BF8A0000
	ds_read_b128 a[96:99], v16                                 // 000000005058: DBFE0000 60000010
	ds_read_b128 a[100:103], v16 offset:512                    // 000000005060: DBFE0200 64000010
	ds_read_b128 a[104:107], v16 offset:2176                   // 000000005068: DBFE0880 68000010
	ds_read_b128 a[108:111], v16 offset:2688                   // 000000005070: DBFE0A80 6C000010
	ds_read_b128 v[108:111], v16 offset:8704                   // 000000005078: D9FE2200 6C000010
	ds_read_b128 v[112:115], v16 offset:9216                   // 000000005080: D9FE2400 70000010
	ds_read_b128 v[116:119], v16 offset:10880                  // 000000005088: D9FE2A80 74000010
	ds_read_b128 v[120:123], v16 offset:11392                  // 000000005090: D9FE2C80 78000010
	ds_read_b32 v140, v27 offset:35584                         // 000000005098: D86C8B00 8C00001B
	ds_read_b32 v144, v27 offset:35648                         // 0000000050A0: D86C8B40 9000001B
	ds_read_b32 v176, v27 offset:35840                         // 0000000050A8: D86C8C00 B000001B
	ds_read_b32 v177, v27 offset:35904                         // 0000000050B0: D86C8C40 B100001B
	v_accvgpr_write_b32 a112, 0                                // 0000000050B8: D3D94070 18000080
	v_mov_b32_e32 v178, 0                                      // 0000000050C0: 7F640280
	v_accvgpr_write_b32 a113, 0                                // 0000000050C4: D3D94071 18000080
	v_mov_b32_e32 v179, 0                                      // 0000000050CC: 7F660280
	v_accvgpr_write_b32 a114, 0                                // 0000000050D0: D3D94072 18000080
	v_mov_b32_e32 v180, 0                                      // 0000000050D8: 7F680280
	v_accvgpr_write_b32 a115, 0                                // 0000000050DC: D3D94073 18000080
	v_mov_b32_e32 v181, 0                                      // 0000000050E4: 7F6A0280
	v_accvgpr_write_b32 a116, 0                                // 0000000050E8: D3D94074 18000080
	v_mov_b32_e32 v182, 0                                      // 0000000050F0: 7F6C0280
	v_accvgpr_write_b32 a117, 0                                // 0000000050F4: D3D94075 18000080
	v_mov_b32_e32 v183, 0                                      // 0000000050FC: 7F6E0280
	v_accvgpr_write_b32 a118, 0                                // 000000005100: D3D94076 18000080
	v_mov_b32_e32 v184, 0                                      // 000000005108: 7F700280
	v_accvgpr_write_b32 a119, 0                                // 00000000510C: D3D94077 18000080
	v_mov_b32_e32 v185, 0                                      // 000000005114: 7F720280
	v_accvgpr_write_b32 a120, 0                                // 000000005118: D3D94078 18000080
	v_mov_b32_e32 v186, 0                                      // 000000005120: 7F740280
	v_accvgpr_write_b32 a121, 0                                // 000000005124: D3D94079 18000080
	v_mov_b32_e32 v187, 0                                      // 00000000512C: 7F760280
	v_accvgpr_write_b32 a122, 0                                // 000000005130: D3D9407A 18000080
	v_mov_b32_e32 v188, 0                                      // 000000005138: 7F780280
	v_accvgpr_write_b32 a123, 0                                // 00000000513C: D3D9407B 18000080
	v_mov_b32_e32 v189, 0                                      // 000000005144: 7F7A0280
	v_accvgpr_write_b32 a124, 0                                // 000000005148: D3D9407C 18000080
	v_mov_b32_e32 v190, 0                                      // 000000005150: 7F7C0280
	v_accvgpr_write_b32 a125, 0                                // 000000005154: D3D9407D 18000080
	v_mov_b32_e32 v191, 0                                      // 00000000515C: 7F7E0280
	v_accvgpr_write_b32 a126, 0                                // 000000005160: D3D9407E 18000080
	v_mov_b32_e32 v192, 0                                      // 000000005168: 7F800280
	v_accvgpr_write_b32 a127, 0                                // 00000000516C: D3D9407F 18000080
	v_mov_b32_e32 v193, 0                                      // 000000005174: 7F820280
	v_accvgpr_write_b32 a128, 0                                // 000000005178: D3D94080 18000080
	v_mov_b32_e32 v194, 0                                      // 000000005180: 7F840280
	v_accvgpr_write_b32 a129, 0                                // 000000005184: D3D94081 18000080
	v_mov_b32_e32 v195, 0                                      // 00000000518C: 7F860280
	v_accvgpr_write_b32 a130, 0                                // 000000005190: D3D94082 18000080
	v_mov_b32_e32 v196, 0                                      // 000000005198: 7F880280
	v_accvgpr_write_b32 a131, 0                                // 00000000519C: D3D94083 18000080
	v_mov_b32_e32 v197, 0                                      // 0000000051A4: 7F8A0280
	v_accvgpr_write_b32 a132, 0                                // 0000000051A8: D3D94084 18000080
	v_mov_b32_e32 v198, 0                                      // 0000000051B0: 7F8C0280
	v_accvgpr_write_b32 a133, 0                                // 0000000051B4: D3D94085 18000080
	v_mov_b32_e32 v199, 0                                      // 0000000051BC: 7F8E0280
	v_accvgpr_write_b32 a134, 0                                // 0000000051C0: D3D94086 18000080
	v_mov_b32_e32 v200, 0                                      // 0000000051C8: 7F900280
	v_accvgpr_write_b32 a135, 0                                // 0000000051CC: D3D94087 18000080
	v_mov_b32_e32 v201, 0                                      // 0000000051D4: 7F920280
	v_accvgpr_write_b32 a136, 0                                // 0000000051D8: D3D94088 18000080
	v_mov_b32_e32 v202, 0                                      // 0000000051E0: 7F940280
	v_accvgpr_write_b32 a137, 0                                // 0000000051E4: D3D94089 18000080
	v_mov_b32_e32 v203, 0                                      // 0000000051EC: 7F960280
	v_accvgpr_write_b32 a138, 0                                // 0000000051F0: D3D9408A 18000080
	v_mov_b32_e32 v204, 0                                      // 0000000051F8: 7F980280
	v_accvgpr_write_b32 a139, 0                                // 0000000051FC: D3D9408B 18000080
	v_mov_b32_e32 v205, 0                                      // 000000005204: 7F9A0280
	v_accvgpr_write_b32 a140, 0                                // 000000005208: D3D9408C 18000080
	v_mov_b32_e32 v206, 0                                      // 000000005210: 7F9C0280
	v_accvgpr_write_b32 a141, 0                                // 000000005214: D3D9408D 18000080
	v_mov_b32_e32 v207, 0                                      // 00000000521C: 7F9E0280
	v_accvgpr_write_b32 a142, 0                                // 000000005220: D3D9408E 18000080
	v_mov_b32_e32 v208, 0                                      // 000000005228: 7FA00280
	v_accvgpr_write_b32 a143, 0                                // 00000000522C: D3D9408F 18000080
	v_mov_b32_e32 v209, 0                                      // 000000005234: 7FA20280
	v_accvgpr_write_b32 a144, 0                                // 000000005238: D3D94090 18000080
	v_mov_b32_e32 v210, 0                                      // 000000005240: 7FA40280
	v_accvgpr_write_b32 a145, 0                                // 000000005244: D3D94091 18000080
	v_mov_b32_e32 v211, 0                                      // 00000000524C: 7FA60280
	v_accvgpr_write_b32 a146, 0                                // 000000005250: D3D94092 18000080
	v_mov_b32_e32 v212, 0                                      // 000000005258: 7FA80280
	v_accvgpr_write_b32 a147, 0                                // 00000000525C: D3D94093 18000080
	v_mov_b32_e32 v213, 0                                      // 000000005264: 7FAA0280
	v_accvgpr_write_b32 a148, 0                                // 000000005268: D3D94094 18000080
	v_mov_b32_e32 v214, 0                                      // 000000005270: 7FAC0280
	v_accvgpr_write_b32 a149, 0                                // 000000005274: D3D94095 18000080
	v_mov_b32_e32 v215, 0                                      // 00000000527C: 7FAE0280
	v_accvgpr_write_b32 a150, 0                                // 000000005280: D3D94096 18000080
	v_mov_b32_e32 v216, 0                                      // 000000005288: 7FB00280
	v_accvgpr_write_b32 a151, 0                                // 00000000528C: D3D94097 18000080
	v_mov_b32_e32 v217, 0                                      // 000000005294: 7FB20280
	v_accvgpr_write_b32 a152, 0                                // 000000005298: D3D94098 18000080
	v_mov_b32_e32 v218, 0                                      // 0000000052A0: 7FB40280
	v_accvgpr_write_b32 a153, 0                                // 0000000052A4: D3D94099 18000080
	v_mov_b32_e32 v219, 0                                      // 0000000052AC: 7FB60280
	v_accvgpr_write_b32 a154, 0                                // 0000000052B0: D3D9409A 18000080
	v_mov_b32_e32 v220, 0                                      // 0000000052B8: 7FB80280
	v_accvgpr_write_b32 a155, 0                                // 0000000052BC: D3D9409B 18000080
	v_mov_b32_e32 v221, 0                                      // 0000000052C4: 7FBA0280
	v_accvgpr_write_b32 a156, 0                                // 0000000052C8: D3D9409C 18000080
	v_mov_b32_e32 v222, 0                                      // 0000000052D0: 7FBC0280
	v_accvgpr_write_b32 a157, 0                                // 0000000052D4: D3D9409D 18000080
	v_mov_b32_e32 v223, 0                                      // 0000000052DC: 7FBE0280
	v_accvgpr_write_b32 a158, 0                                // 0000000052E0: D3D9409E 18000080
	v_mov_b32_e32 v224, 0                                      // 0000000052E8: 7FC00280
	v_accvgpr_write_b32 a159, 0                                // 0000000052EC: D3D9409F 18000080
	v_mov_b32_e32 v225, 0                                      // 0000000052F4: 7FC20280
	v_mov_b32_e32 v156, 0                                      // 0000000052F8: 7F380280
	v_mov_b32_e32 v157, 0                                      // 0000000052FC: 7F3A0280
	v_mov_b32_e32 v158, 0                                      // 000000005300: 7F3C0280
	v_mov_b32_e32 v159, 0                                      // 000000005304: 7F3E0280
	v_mov_b32_e32 v160, 0                                      // 000000005308: 7F400280
	v_mov_b32_e32 v161, 0                                      // 00000000530C: 7F420280
	v_mov_b32_e32 v162, 0                                      // 000000005310: 7F440280
	v_mov_b32_e32 v163, 0                                      // 000000005314: 7F460280
	v_mov_b32_e32 v148, 0                                      // 000000005318: 7F280280
	v_mov_b32_e32 v149, 0                                      // 00000000531C: 7F2A0280
	v_mov_b32_e32 v150, 0                                      // 000000005320: 7F2C0280
	v_mov_b32_e32 v151, 0                                      // 000000005324: 7F2E0280
	v_mov_b32_e32 v152, 0                                      // 000000005328: 7F300280
	v_mov_b32_e32 v153, 0                                      // 00000000532C: 7F320280
	v_mov_b32_e32 v154, 0                                      // 000000005330: 7F340280
	v_mov_b32_e32 v155, 0                                      // 000000005334: 7F360280
	s_waitcnt lgkmcnt(0)                                       // 000000005338: BF8CC07F
	s_barrier                                                  // 00000000533C: BF8A0000
	buffer_load_dword v36, v1, s[8:11], 0 idxen                // 000000005340: E0502000 80022401
	buffer_load_dword v37, v2, s[8:11], 0 idxen                // 000000005348: E0502000 80022502
	;; [unrolled: 1-line block ×4, first 2 shown]
	buffer_load_dword v44, v1, s[20:23], 0 idxen               // 000000005360: E0502000 80052C01
	buffer_load_dword v45, v2, s[20:23], 0 idxen               // 000000005368: E0502000 80052D02
	buffer_load_dword v46, v3, s[20:23], 0 idxen               // 000000005370: E0502000 80052E03
	buffer_load_dword v47, v4, s[20:23], 0 idxen               // 000000005378: E0502000 80052F04
	buffer_load_dword v15, s[24:27], 0 idxen lds               // 000000005380: E0512000 8006000F
	s_add_u32 s60, 0x60, s59                                   // 000000005388: 803C3BFF 00000060
	s_cmp_lt_u32 s60, s58                                      // 000000005390: BF0A3A3C
	s_cselect_b32 s68, s68, 0                                  // 000000005394: 85448044
	s_cselect_b32 s69, s69, 0                                  // 000000005398: 85458045
	s_mov_b32 m0, s77                                          // 00000000539C: BEFC004D
	v_add_u32_e32 v15, s69, v15                                // 0000000053A0: 681E1E45
	s_add_u32 s8, s68, s8                                      // 0000000053A4: 80080844
	s_addc_u32 s9, 0, s9                                       // 0000000053A8: 82090980
	s_add_u32 s20, s68, s20                                    // 0000000053AC: 80141444
	s_addc_u32 s21, 0, s21                                     // 0000000053B0: 82151580
	v_mul_f32_e32 v140, s49, v140                              // 0000000053B4: 0B191831
	v_mul_f32_e32 v144, s49, v144                              // 0000000053B8: 0B212031
	v_perm_b32 v100, v41, v40, s63                             // 0000000053BC: D1ED0064 00FE5129
	v_perm_b32 v101, v41, v40, s64                             // 0000000053C4: D1ED0065 01025129
	v_perm_b32 v102, v43, v42, s63                             // 0000000053CC: D1ED0066 00FE552B
	v_perm_b32 v103, v43, v42, s64                             // 0000000053D4: D1ED0067 0102552B
	v_perm_b32 v104, v49, v48, s63                             // 0000000053DC: D1ED0068 00FE6131
	v_perm_b32 v105, v49, v48, s64                             // 0000000053E4: D1ED0069 01026131
	v_perm_b32 v106, v51, v50, s63                             // 0000000053EC: D1ED006A 00FE6533
	v_perm_b32 v107, v51, v50, s64                             // 0000000053F4: D1ED006B 01026533
	v_mov_b32_dpp v143, v140 quad_perm:[3,3,3,3] row_mask:0xf bank_mask:0xf// 0000000053FC: 7F1E02FA FF00FF8C
	v_mov_b32_dpp v142, v140 quad_perm:[2,2,2,2] row_mask:0xf bank_mask:0xf// 000000005404: 7F1C02FA FF00AA8C
	v_mov_b32_dpp v141, v140 quad_perm:[1,1,1,1] row_mask:0xf bank_mask:0xf// 00000000540C: 7F1A02FA FF00558C
	v_mov_b32_dpp v140, v140 quad_perm:[0,0,0,0] row_mask:0xf bank_mask:0xf// 000000005414: 7F1802FA FF00008C
	v_mov_b32_dpp v147, v144 quad_perm:[3,3,3,3] row_mask:0xf bank_mask:0xf// 00000000541C: 7F2602FA FF00FF90
	v_mov_b32_dpp v146, v144 quad_perm:[2,2,2,2] row_mask:0xf bank_mask:0xf// 000000005424: 7F2402FA FF00AA90
	v_mov_b32_dpp v145, v144 quad_perm:[1,1,1,1] row_mask:0xf bank_mask:0xf// 00000000542C: 7F2202FA FF005590
	v_mov_b32_dpp v144, v144 quad_perm:[0,0,0,0] row_mask:0xf bank_mask:0xf// 000000005434: 7F2002FA FF000090
	s_waitcnt vmcnt(9)                                         // 00000000543C: BF8C0F79
	s_barrier                                                  // 000000005440: BF8A0000
	s_cmp_lt_i32 s47, 2                                        // 000000005444: BF04822F
	s_cbranch_scc0 label_0F10                                  // 000000005448: BF84097D
	s_nop 0                                                    // 00000000544C: BF800000
	s_nop 0                                                    // 000000005450: BF800000
	s_nop 0                                                    // 000000005454: BF800000

0000000000005458 <label_0596>:
	s_waitcnt lgkmcnt(4)                                       // 000000005458: BF8CC47F
	s_barrier                                                  // 00000000545C: BF8A0000
	v_mfma_f32_16x16x16_bf16 v[52:55], a[96:97], a[0:1], 0     // 000000005460: D3E10034 1A020160
	ds_write_b32 v17, v48 offset:8704                          // 000000005468: D81A2200 00003011
	ds_write_b32 v17, v49 offset:9760                          // 000000005470: D81A2620 00003111
	v_mfma_f32_16x16x16_bf16 v[52:55], a[98:99], a[2:3], v[52:55]// 000000005478: D3E10034 1CD20562
	v_mul_f32_e32 v148, s48, v148                              // 000000005480: 0B292830
	v_mul_f32_e32 v149, s48, v149                              // 000000005484: 0B2B2A30
	v_mfma_f32_16x16x16_bf16 v[52:55], a[100:101], a[4:5], v[52:55]// 000000005488: D3E10034 1CD20964
	ds_write_b32 v17, v50 offset:10880                         // 000000005490: D81A2A80 00003211
	ds_write_b32 v17, v51 offset:11936                         // 000000005498: D81A2EA0 00003311
	v_mfma_f32_16x16x16_bf16 v[52:55], a[102:103], a[6:7], v[52:55]// 0000000054A0: D3E10034 1CD20D66
	v_mul_f32_e32 v150, s48, v150                              // 0000000054A8: 0B2D2C30
	v_mul_f32_e32 v151, s48, v151                              // 0000000054AC: 0B2F2E30
	v_mfma_f32_16x16x16_bf16 v[56:59], a[96:97], a[8:9], 0     // 0000000054B0: D3E10038 1A021160
	v_mul_f32_e32 v152, s48, v152                              // 0000000054B8: 0B313030
	v_mul_f32_e32 v153, s48, v153                              // 0000000054BC: 0B333230
	v_mfma_f32_16x16x16_bf16 v[56:59], a[98:99], a[10:11], v[56:59]// 0000000054C0: D3E10038 1CE21562
	v_mul_f32_e32 v154, s48, v154                              // 0000000054C8: 0B353430
	v_mul_f32_e32 v155, s48, v155                              // 0000000054CC: 0B373630
	v_mfma_f32_16x16x16_bf16 v[56:59], a[100:101], a[12:13], v[56:59]// 0000000054D0: D3E10038 1CE21964
	v_cmp_u_f32_e64 s[74:75], v148, v148                       // 0000000054D8: D048004A 00032994
	v_bfe_u32 v226, v148, 16, 1                                // 0000000054E0: D1C800E2 02052194
	v_add3_u32 v226, v148, v226, v229                          // 0000000054E8: D1FF00E2 0797C594
	v_cndmask_b32_e64 v32, v226, v228, s[74:75]                // 0000000054F0: D1000020 012BC9E2
	v_lshrrev_b32_e32 v32, 16, v32                             // 0000000054F8: 20404090
	v_cmp_u_f32_e64 s[74:75], v149, v149                       // 0000000054FC: D048004A 00032B95
	v_bfe_u32 v226, v149, 16, 1                                // 000000005504: D1C800E2 02052195
	v_add3_u32 v226, v149, v226, v229                          // 00000000550C: D1FF00E2 0797C595
	v_cndmask_b32_e64 v33, v226, v228, s[74:75]                // 000000005514: D1000021 012BC9E2
	v_and_or_b32 v148, v33, v227, v32                          // 00000000551C: D2010094 0483C721
	v_cmp_u_f32_e64 s[74:75], v150, v150                       // 000000005524: D048004A 00032D96
	v_bfe_u32 v226, v150, 16, 1                                // 00000000552C: D1C800E2 02052196
	v_add3_u32 v226, v150, v226, v229                          // 000000005534: D1FF00E2 0797C596
	v_cndmask_b32_e64 v32, v226, v228, s[74:75]                // 00000000553C: D1000020 012BC9E2
	v_lshrrev_b32_e32 v32, 16, v32                             // 000000005544: 20404090
	v_cmp_u_f32_e64 s[74:75], v151, v151                       // 000000005548: D048004A 00032F97
	v_bfe_u32 v226, v151, 16, 1                                // 000000005550: D1C800E2 02052197
	v_add3_u32 v226, v151, v226, v229                          // 000000005558: D1FF00E2 0797C597
	v_cndmask_b32_e64 v33, v226, v228, s[74:75]                // 000000005560: D1000021 012BC9E2
	v_and_or_b32 v149, v33, v227, v32                          // 000000005568: D2010095 0483C721
	v_mfma_f32_16x16x16_bf16 v[56:59], a[102:103], a[14:15], v[56:59]// 000000005570: D3E10038 1CE21D66
	v_cmp_u_f32_e64 s[74:75], v152, v152                       // 000000005578: D048004A 00033198
	v_bfe_u32 v226, v152, 16, 1                                // 000000005580: D1C800E2 02052198
	v_add3_u32 v226, v152, v226, v229                          // 000000005588: D1FF00E2 0797C598
	v_cndmask_b32_e64 v32, v226, v228, s[74:75]                // 000000005590: D1000020 012BC9E2
	v_lshrrev_b32_e32 v32, 16, v32                             // 000000005598: 20404090
	v_cmp_u_f32_e64 s[74:75], v153, v153                       // 00000000559C: D048004A 00033399
	v_bfe_u32 v226, v153, 16, 1                                // 0000000055A4: D1C800E2 02052199
	v_add3_u32 v226, v153, v226, v229                          // 0000000055AC: D1FF00E2 0797C599
	v_cndmask_b32_e64 v33, v226, v228, s[74:75]                // 0000000055B4: D1000021 012BC9E2
	v_and_or_b32 v150, v33, v227, v32                          // 0000000055BC: D2010096 0483C721
	v_cmp_u_f32_e64 s[74:75], v154, v154                       // 0000000055C4: D048004A 0003359A
	v_bfe_u32 v226, v154, 16, 1                                // 0000000055CC: D1C800E2 0205219A
	v_add3_u32 v226, v154, v226, v229                          // 0000000055D4: D1FF00E2 0797C59A
	v_cndmask_b32_e64 v32, v226, v228, s[74:75]                // 0000000055DC: D1000020 012BC9E2
	v_lshrrev_b32_e32 v32, 16, v32                             // 0000000055E4: 20404090
	v_cmp_u_f32_e64 s[74:75], v155, v155                       // 0000000055E8: D048004A 0003379B
	v_bfe_u32 v226, v155, 16, 1                                // 0000000055F0: D1C800E2 0205219B
	v_add3_u32 v226, v155, v226, v229                          // 0000000055F8: D1FF00E2 0797C59B
	v_cndmask_b32_e64 v33, v226, v228, s[74:75]                // 000000005600: D1000021 012BC9E2
	v_and_or_b32 v151, v33, v227, v32                          // 000000005608: D2010097 0483C721
	v_mfma_f32_16x16x16_bf16 v[60:63], a[96:97], a[16:17], 0   // 000000005610: D3E1003C 1A022160
	ds_write_b64 v26, v[148:149] offset:31232                  // 000000005618: D89A7A00 0000941A
	v_mfma_f32_16x16x16_bf16 v[60:63], a[98:99], a[18:19], v[60:63]// 000000005620: D3E1003C 1CF22562
	v_mfma_f32_16x16x16_bf16 v[60:63], a[100:101], a[20:21], v[60:63]// 000000005628: D3E1003C 1CF22964
	ds_write_b64 v26, v[150:151] offset:31776                  // 000000005630: D89A7C20 0000961A
	v_mfma_f32_16x16x16_bf16 v[60:63], a[102:103], a[22:23], v[60:63]// 000000005638: D3E1003C 1CF22D66
	v_mfma_f32_16x16x16_bf16 v[64:67], a[104:105], a[0:1], 0   // 000000005640: D3E10040 1A020168
	ds_read_b128 v[124:127], v18 offset:13056                  // 000000005648: D9FE3300 7C000012
	ds_write_b32 v17, v40                                      // 000000005650: D81A0000 00002811
	v_mfma_f32_16x16x16_bf16 v[64:67], a[106:107], a[2:3], v[64:67]// 000000005658: D3E10040 1D02056A
	v_mfma_f32_16x16x16_bf16 v[64:67], a[108:109], a[4:5], v[64:67]// 000000005660: D3E10040 1D02096C
	v_mfma_f32_16x16x16_bf16 v[64:67], a[110:111], a[6:7], v[64:67]// 000000005668: D3E10040 1D020D6E
	ds_read_b128 v[128:131], v18 offset:13568                  // 000000005670: D9FE3500 80000012
	ds_write_b32 v17, v41 offset:1056                          // 000000005678: D81A0420 00002911
	v_mfma_f32_16x16x16_bf16 v[68:71], a[104:105], a[8:9], 0   // 000000005680: D3E10044 1A021168
	v_mfma_f32_16x16x16_bf16 v[68:71], a[106:107], a[10:11], v[68:71]// 000000005688: D3E10044 1D12156A
	v_mfma_f32_16x16x16_bf16 v[68:71], a[108:109], a[12:13], v[68:71]// 000000005690: D3E10044 1D12196C
	ds_read_b128 v[132:135], v18 offset:15232                  // 000000005698: D9FE3B80 84000012
	ds_write_b32 v17, v42 offset:2176                          // 0000000056A0: D81A0880 00002A11
	v_mfma_f32_16x16x16_bf16 v[68:71], a[110:111], a[14:15], v[68:71]// 0000000056A8: D3E10044 1D121D6E
	v_mfma_f32_16x16x16_bf16 v[72:75], a[104:105], a[16:17], 0 // 0000000056B0: D3E10048 1A022168
	v_mfma_f32_16x16x16_bf16 v[72:75], a[106:107], a[18:19], v[72:75]// 0000000056B8: D3E10048 1D22256A
	ds_read_b128 v[136:139], v18 offset:15744                  // 0000000056C0: D9FE3D80 88000012
	ds_write_b32 v17, v43 offset:3232                          // 0000000056C8: D81A0CA0 00002B11
	v_mfma_f32_16x16x16_bf16 v[72:75], a[108:109], a[20:21], v[72:75]// 0000000056D0: D3E10048 1D22296C
	v_mfma_f32_16x16x16_bf16 v[72:75], a[110:111], a[22:23], v[72:75]// 0000000056D8: D3E10048 1D222D6E
	s_cmp_lt_i32 s73, 3                                        // 0000000056E0: BF048349
	s_cbranch_scc0 label_0651                                  // 0000000056E4: BF840017
	s_cmp_eq_i32 s73, 1                                        // 0000000056E8: BF008149
	s_cbranch_scc1 label_063F                                  // 0000000056EC: BF850003
	s_cmp_eq_i32 s73, 2                                        // 0000000056F0: BF008249
	s_cbranch_scc1 label_0648                                  // 0000000056F4: BF85000A
	s_branch label_0651                                        // 0000000056F8: BF820012

00000000000056fc <label_063F>:
	v_mov_b32_e32 v56, v230                                    // 0000000056FC: 7E7003E6
	v_mov_b32_e32 v68, v230                                    // 000000005700: 7E8803E6
	v_mov_b32_e32 v57, v230                                    // 000000005704: 7E7203E6
	v_mov_b32_e32 v69, v230                                    // 000000005708: 7E8A03E6
	v_mov_b32_e32 v58, v230                                    // 00000000570C: 7E7403E6
	v_mov_b32_e32 v70, v230                                    // 000000005710: 7E8C03E6
	v_mov_b32_e32 v59, v230                                    // 000000005714: 7E7603E6
	v_mov_b32_e32 v71, v230                                    // 000000005718: 7E8E03E6
	s_branch label_0648                                        // 00000000571C: BF820000

0000000000005720 <label_0648>:
	v_mov_b32_e32 v60, v230                                    // 000000005720: 7E7803E6
	v_mov_b32_e32 v72, v230                                    // 000000005724: 7E9003E6
	v_mov_b32_e32 v61, v230                                    // 000000005728: 7E7A03E6
	v_mov_b32_e32 v73, v230                                    // 00000000572C: 7E9203E6
	v_mov_b32_e32 v62, v230                                    // 000000005730: 7E7C03E6
	v_mov_b32_e32 v74, v230                                    // 000000005734: 7E9403E6
	v_mov_b32_e32 v63, v230                                    // 000000005738: 7E7E03E6
	v_mov_b32_e32 v75, v230                                    // 00000000573C: 7E9603E6
	s_branch label_0651                                        // 000000005740: BF820000

0000000000005744 <label_0651>:
	s_waitcnt lgkmcnt(8)                                       // 000000005744: BF8CC87F
	s_barrier                                                  // 000000005748: BF8A0000
	v_mfma_f32_16x16x16_bf16 v[76:79], v[108:109], a[72:73], 0 // 00000000574C: D3E1004C 1202916C
	ds_read_b128 a[96:99], v18 offset:4352                     // 000000005754: DBFE1100 60000012
	ds_read_b128 a[100:103], v18 offset:4864                   // 00000000575C: DBFE1300 64000012
	v_mfma_f32_16x16x16_bf16 v[76:79], v[110:111], a[74:75], v[76:79]// 000000005764: D3E1004C 1532956E
	v_fma_f32 v52, v52, s57, -v140                             // 00000000576C: D1CB0034 86307334
	v_fma_f32 v53, v53, s57, -v141                             // 000000005774: D1CB0035 86347335
	v_fma_f32 v54, v54, s57, -v142                             // 00000000577C: D1CB0036 86387336
	v_fma_f32 v55, v55, s57, -v143                             // 000000005784: D1CB0037 863C7337
	v_fma_f32 v56, v56, s57, -v140                             // 00000000578C: D1CB0038 86307338
	v_fma_f32 v57, v57, s57, -v141                             // 000000005794: D1CB0039 86347339
	v_mfma_f32_16x16x16_bf16 v[76:79], v[112:113], a[76:77], v[76:79]// 00000000579C: D3E1004C 15329970
	v_fma_f32 v58, v58, s57, -v142                             // 0000000057A4: D1CB003A 8638733A
	v_fma_f32 v59, v59, s57, -v143                             // 0000000057AC: D1CB003B 863C733B
	v_fma_f32 v60, v60, s57, -v140                             // 0000000057B4: D1CB003C 8630733C
	v_fma_f32 v61, v61, s57, -v141                             // 0000000057BC: D1CB003D 8634733D
	v_fma_f32 v62, v62, s57, -v142                             // 0000000057C4: D1CB003E 8638733E
	v_fma_f32 v63, v63, s57, -v143                             // 0000000057CC: D1CB003F 863C733F
	v_mfma_f32_16x16x16_bf16 v[76:79], v[114:115], a[78:79], v[76:79]// 0000000057D4: D3E1004C 15329D72
	v_fma_f32 v64, v64, s57, -v144                             // 0000000057DC: D1CB0040 86407340
	v_fma_f32 v65, v65, s57, -v145                             // 0000000057E4: D1CB0041 86447341
	v_fma_f32 v66, v66, s57, -v146                             // 0000000057EC: D1CB0042 86487342
	v_fma_f32 v67, v67, s57, -v147                             // 0000000057F4: D1CB0043 864C7343
	v_fma_f32 v68, v68, s57, -v144                             // 0000000057FC: D1CB0044 86407344
	v_fma_f32 v69, v69, s57, -v145                             // 000000005804: D1CB0045 86447345
	v_mfma_f32_16x16x16_bf16 v[80:83], v[108:109], a[80:81], 0 // 00000000580C: D3E10050 1202A16C
	ds_read_b128 a[104:107], v18 offset:6528                   // 000000005814: DBFE1980 68000012
	ds_read_b128 a[108:111], v18 offset:7040                   // 00000000581C: DBFE1B80 6C000012
	v_mfma_f32_16x16x16_bf16 v[80:83], v[110:111], a[82:83], v[80:83]// 000000005824: D3E10050 1542A56E
	v_fma_f32 v70, v70, s57, -v146                             // 00000000582C: D1CB0046 86487346
	v_fma_f32 v71, v71, s57, -v147                             // 000000005834: D1CB0047 864C7347
	v_fma_f32 v72, v72, s57, -v144                             // 00000000583C: D1CB0048 86407348
	v_fma_f32 v73, v73, s57, -v145                             // 000000005844: D1CB0049 86447349
	v_fma_f32 v74, v74, s57, -v146                             // 00000000584C: D1CB004A 8648734A
	v_fma_f32 v75, v75, s57, -v147                             // 000000005854: D1CB004B 864C734B
	v_mfma_f32_16x16x16_bf16 v[80:83], v[112:113], a[84:85], v[80:83]// 00000000585C: D3E10050 1542A970
	v_exp_f32_e32 v52, v52                                     // 000000005864: 7E684134
	v_exp_f32_e32 v53, v53                                     // 000000005868: 7E6A4135
	v_mfma_f32_16x16x16_bf16 v[80:83], v[114:115], a[86:87], v[80:83]// 00000000586C: D3E10050 1542AD72
	v_exp_f32_e32 v54, v54                                     // 000000005874: 7E6C4136
	v_exp_f32_e32 v55, v55                                     // 000000005878: 7E6E4137
	v_mfma_f32_16x16x16_bf16 v[84:87], v[108:109], a[88:89], 0 // 00000000587C: D3E10054 1202B16C
	ds_read_b32 v156, v25 offset:31232                         // 000000005884: D86C7A00 9C000019
	ds_read_b32 v157, v25 offset:31248                         // 00000000588C: D86C7A10 9D000019
	v_mfma_f32_16x16x16_bf16 v[84:87], v[110:111], a[90:91], v[84:87]// 000000005894: D3E10054 1552B56E
	v_exp_f32_e32 v56, v56                                     // 00000000589C: 7E704138
	v_exp_f32_e32 v57, v57                                     // 0000000058A0: 7E724139
	v_mfma_f32_16x16x16_bf16 v[84:87], v[112:113], a[92:93], v[84:87]// 0000000058A4: D3E10054 1552B970
	ds_read_b32 v158, v25 offset:31264                         // 0000000058AC: D86C7A20 9E000019
	ds_read_b32 v159, v25 offset:31280                         // 0000000058B4: D86C7A30 9F000019
	v_mfma_f32_16x16x16_bf16 v[84:87], v[114:115], a[94:95], v[84:87]// 0000000058BC: D3E10054 1552BD72
	v_exp_f32_e32 v58, v58                                     // 0000000058C4: 7E74413A
	v_exp_f32_e32 v59, v59                                     // 0000000058C8: 7E76413B
	v_mfma_f32_16x16x16_bf16 v[88:91], v[116:117], a[72:73], 0 // 0000000058CC: D3E10058 12029174
	v_exp_f32_e32 v60, v60                                     // 0000000058D4: 7E78413C
	v_exp_f32_e32 v61, v61                                     // 0000000058D8: 7E7A413D
	v_mfma_f32_16x16x16_bf16 v[88:91], v[118:119], a[74:75], v[88:91]// 0000000058DC: D3E10058 15629576
	v_exp_f32_e32 v62, v62                                     // 0000000058E4: 7E7C413E
	v_exp_f32_e32 v63, v63                                     // 0000000058E8: 7E7E413F
	v_mfma_f32_16x16x16_bf16 v[88:91], v[120:121], a[76:77], v[88:91]// 0000000058EC: D3E10058 15629978
	v_exp_f32_e32 v64, v64                                     // 0000000058F4: 7E804140
	v_exp_f32_e32 v65, v65                                     // 0000000058F8: 7E824141
	v_mfma_f32_16x16x16_bf16 v[88:91], v[122:123], a[78:79], v[88:91]// 0000000058FC: D3E10058 15629D7A
	v_exp_f32_e32 v66, v66                                     // 000000005904: 7E844142
	v_exp_f32_e32 v67, v67                                     // 000000005908: 7E864143
	v_mfma_f32_16x16x16_bf16 v[92:95], v[116:117], a[80:81], 0 // 00000000590C: D3E1005C 1202A174
	v_exp_f32_e32 v68, v68                                     // 000000005914: 7E884144
	v_exp_f32_e32 v69, v69                                     // 000000005918: 7E8A4145
	v_mfma_f32_16x16x16_bf16 v[92:95], v[118:119], a[82:83], v[92:95]// 00000000591C: D3E1005C 1572A576
	v_exp_f32_e32 v70, v70                                     // 000000005924: 7E8C4146
	v_exp_f32_e32 v71, v71                                     // 000000005928: 7E8E4147
	v_mfma_f32_16x16x16_bf16 v[92:95], v[120:121], a[84:85], v[92:95]// 00000000592C: D3E1005C 1572A978
	v_exp_f32_e32 v72, v72                                     // 000000005934: 7E904148
	v_exp_f32_e32 v73, v73                                     // 000000005938: 7E924149
	v_mfma_f32_16x16x16_bf16 v[92:95], v[122:123], a[86:87], v[92:95]// 00000000593C: D3E1005C 1572AD7A
	v_exp_f32_e32 v74, v74                                     // 000000005944: 7E94414A
	v_exp_f32_e32 v75, v75                                     // 000000005948: 7E96414B
	v_mfma_f32_16x16x16_bf16 v[96:99], v[116:117], a[88:89], 0 // 00000000594C: D3E10060 1202B174
	v_cmp_u_f32_e64 s[74:75], v52, v52                         // 000000005954: D048004A 00026934
	v_bfe_u32 v226, v52, 16, 1                                 // 00000000595C: D1C800E2 02052134
	v_add3_u32 v226, v52, v226, v229                           // 000000005964: D1FF00E2 0797C534
	v_cndmask_b32_e64 v32, v226, v228, s[74:75]                // 00000000596C: D1000020 012BC9E2
	v_lshrrev_b32_e32 v32, 16, v32                             // 000000005974: 20404090
	v_cmp_u_f32_e64 s[74:75], v53, v53                         // 000000005978: D048004A 00026B35
	v_bfe_u32 v226, v53, 16, 1                                 // 000000005980: D1C800E2 02052135
	v_add3_u32 v226, v53, v226, v229                           // 000000005988: D1FF00E2 0797C535
	v_cndmask_b32_e64 v33, v226, v228, s[74:75]                // 000000005990: D1000021 012BC9E2
	v_and_or_b32 v164, v33, v227, v32                          // 000000005998: D20100A4 0483C721
	v_cmp_u_f32_e64 s[74:75], v54, v54                         // 0000000059A0: D048004A 00026D36
	v_bfe_u32 v226, v54, 16, 1                                 // 0000000059A8: D1C800E2 02052136
	v_add3_u32 v226, v54, v226, v229                           // 0000000059B0: D1FF00E2 0797C536
	v_cndmask_b32_e64 v32, v226, v228, s[74:75]                // 0000000059B8: D1000020 012BC9E2
	v_lshrrev_b32_e32 v32, 16, v32                             // 0000000059C0: 20404090
	v_cmp_u_f32_e64 s[74:75], v55, v55                         // 0000000059C4: D048004A 00026F37
	v_bfe_u32 v226, v55, 16, 1                                 // 0000000059CC: D1C800E2 02052137
	v_add3_u32 v226, v55, v226, v229                           // 0000000059D4: D1FF00E2 0797C537
	v_cndmask_b32_e64 v33, v226, v228, s[74:75]                // 0000000059DC: D1000021 012BC9E2
	v_and_or_b32 v165, v33, v227, v32                          // 0000000059E4: D20100A5 0483C721
	v_cmp_u_f32_e64 s[74:75], v56, v56                         // 0000000059EC: D048004A 00027138
	v_bfe_u32 v226, v56, 16, 1                                 // 0000000059F4: D1C800E2 02052138
	v_add3_u32 v226, v56, v226, v229                           // 0000000059FC: D1FF00E2 0797C538
	v_cndmask_b32_e64 v32, v226, v228, s[74:75]                // 000000005A04: D1000020 012BC9E2
	v_lshrrev_b32_e32 v32, 16, v32                             // 000000005A0C: 20404090
	v_cmp_u_f32_e64 s[74:75], v57, v57                         // 000000005A10: D048004A 00027339
	v_bfe_u32 v226, v57, 16, 1                                 // 000000005A18: D1C800E2 02052139
	v_add3_u32 v226, v57, v226, v229                           // 000000005A20: D1FF00E2 0797C539
	v_cndmask_b32_e64 v33, v226, v228, s[74:75]                // 000000005A28: D1000021 012BC9E2
	v_and_or_b32 v166, v33, v227, v32                          // 000000005A30: D20100A6 0483C721
	v_cmp_u_f32_e64 s[74:75], v58, v58                         // 000000005A38: D048004A 0002753A
	v_bfe_u32 v226, v58, 16, 1                                 // 000000005A40: D1C800E2 0205213A
	v_add3_u32 v226, v58, v226, v229                           // 000000005A48: D1FF00E2 0797C53A
	v_cndmask_b32_e64 v32, v226, v228, s[74:75]                // 000000005A50: D1000020 012BC9E2
	v_lshrrev_b32_e32 v32, 16, v32                             // 000000005A58: 20404090
	v_cmp_u_f32_e64 s[74:75], v59, v59                         // 000000005A5C: D048004A 0002773B
	v_bfe_u32 v226, v59, 16, 1                                 // 000000005A64: D1C800E2 0205213B
	v_add3_u32 v226, v59, v226, v229                           // 000000005A6C: D1FF00E2 0797C53B
	v_cndmask_b32_e64 v33, v226, v228, s[74:75]                // 000000005A74: D1000021 012BC9E2
	v_and_or_b32 v167, v33, v227, v32                          // 000000005A7C: D20100A7 0483C721
	v_cmp_u_f32_e64 s[74:75], v60, v60                         // 000000005A84: D048004A 0002793C
	v_bfe_u32 v226, v60, 16, 1                                 // 000000005A8C: D1C800E2 0205213C
	v_add3_u32 v226, v60, v226, v229                           // 000000005A94: D1FF00E2 0797C53C
	v_cndmask_b32_e64 v32, v226, v228, s[74:75]                // 000000005A9C: D1000020 012BC9E2
	v_lshrrev_b32_e32 v32, 16, v32                             // 000000005AA4: 20404090
	v_cmp_u_f32_e64 s[74:75], v61, v61                         // 000000005AA8: D048004A 00027B3D
	v_bfe_u32 v226, v61, 16, 1                                 // 000000005AB0: D1C800E2 0205213D
	v_add3_u32 v226, v61, v226, v229                           // 000000005AB8: D1FF00E2 0797C53D
	v_cndmask_b32_e64 v33, v226, v228, s[74:75]                // 000000005AC0: D1000021 012BC9E2
	v_and_or_b32 v168, v33, v227, v32                          // 000000005AC8: D20100A8 0483C721
	v_cmp_u_f32_e64 s[74:75], v62, v62                         // 000000005AD0: D048004A 00027D3E
	v_bfe_u32 v226, v62, 16, 1                                 // 000000005AD8: D1C800E2 0205213E
	v_add3_u32 v226, v62, v226, v229                           // 000000005AE0: D1FF00E2 0797C53E
	v_cndmask_b32_e64 v32, v226, v228, s[74:75]                // 000000005AE8: D1000020 012BC9E2
	v_lshrrev_b32_e32 v32, 16, v32                             // 000000005AF0: 20404090
	v_cmp_u_f32_e64 s[74:75], v63, v63                         // 000000005AF4: D048004A 00027F3F
	v_bfe_u32 v226, v63, 16, 1                                 // 000000005AFC: D1C800E2 0205213F
	v_add3_u32 v226, v63, v226, v229                           // 000000005B04: D1FF00E2 0797C53F
	v_cndmask_b32_e64 v33, v226, v228, s[74:75]                // 000000005B0C: D1000021 012BC9E2
	v_and_or_b32 v169, v33, v227, v32                          // 000000005B14: D20100A9 0483C721
	v_mfma_f32_16x16x16_bf16 v[96:99], v[118:119], a[90:91], v[96:99]// 000000005B1C: D3E10060 1582B576
	v_cmp_u_f32_e64 s[74:75], v64, v64                         // 000000005B24: D048004A 00028140
	v_bfe_u32 v226, v64, 16, 1                                 // 000000005B2C: D1C800E2 02052140
	v_add3_u32 v226, v64, v226, v229                           // 000000005B34: D1FF00E2 0797C540
	v_cndmask_b32_e64 v32, v226, v228, s[74:75]                // 000000005B3C: D1000020 012BC9E2
	v_lshrrev_b32_e32 v32, 16, v32                             // 000000005B44: 20404090
	v_cmp_u_f32_e64 s[74:75], v65, v65                         // 000000005B48: D048004A 00028341
	v_bfe_u32 v226, v65, 16, 1                                 // 000000005B50: D1C800E2 02052141
	v_add3_u32 v226, v65, v226, v229                           // 000000005B58: D1FF00E2 0797C541
	v_cndmask_b32_e64 v33, v226, v228, s[74:75]                // 000000005B60: D1000021 012BC9E2
	v_and_or_b32 v170, v33, v227, v32                          // 000000005B68: D20100AA 0483C721
	v_cmp_u_f32_e64 s[74:75], v66, v66                         // 000000005B70: D048004A 00028542
	v_bfe_u32 v226, v66, 16, 1                                 // 000000005B78: D1C800E2 02052142
	v_add3_u32 v226, v66, v226, v229                           // 000000005B80: D1FF00E2 0797C542
	v_cndmask_b32_e64 v32, v226, v228, s[74:75]                // 000000005B88: D1000020 012BC9E2
	v_lshrrev_b32_e32 v32, 16, v32                             // 000000005B90: 20404090
	v_cmp_u_f32_e64 s[74:75], v67, v67                         // 000000005B94: D048004A 00028743
	v_bfe_u32 v226, v67, 16, 1                                 // 000000005B9C: D1C800E2 02052143
	v_add3_u32 v226, v67, v226, v229                           // 000000005BA4: D1FF00E2 0797C543
	v_cndmask_b32_e64 v33, v226, v228, s[74:75]                // 000000005BAC: D1000021 012BC9E2
	v_and_or_b32 v171, v33, v227, v32                          // 000000005BB4: D20100AB 0483C721
	v_cmp_u_f32_e64 s[74:75], v68, v68                         // 000000005BBC: D048004A 00028944
	v_bfe_u32 v226, v68, 16, 1                                 // 000000005BC4: D1C800E2 02052144
	v_add3_u32 v226, v68, v226, v229                           // 000000005BCC: D1FF00E2 0797C544
	v_cndmask_b32_e64 v32, v226, v228, s[74:75]                // 000000005BD4: D1000020 012BC9E2
	v_lshrrev_b32_e32 v32, 16, v32                             // 000000005BDC: 20404090
	v_cmp_u_f32_e64 s[74:75], v69, v69                         // 000000005BE0: D048004A 00028B45
	v_bfe_u32 v226, v69, 16, 1                                 // 000000005BE8: D1C800E2 02052145
	v_add3_u32 v226, v69, v226, v229                           // 000000005BF0: D1FF00E2 0797C545
	v_cndmask_b32_e64 v33, v226, v228, s[74:75]                // 000000005BF8: D1000021 012BC9E2
	v_and_or_b32 v172, v33, v227, v32                          // 000000005C00: D20100AC 0483C721
	v_cmp_u_f32_e64 s[74:75], v70, v70                         // 000000005C08: D048004A 00028D46
	v_bfe_u32 v226, v70, 16, 1                                 // 000000005C10: D1C800E2 02052146
	v_add3_u32 v226, v70, v226, v229                           // 000000005C18: D1FF00E2 0797C546
	v_cndmask_b32_e64 v32, v226, v228, s[74:75]                // 000000005C20: D1000020 012BC9E2
	v_lshrrev_b32_e32 v32, 16, v32                             // 000000005C28: 20404090
	v_cmp_u_f32_e64 s[74:75], v71, v71                         // 000000005C2C: D048004A 00028F47
	v_bfe_u32 v226, v71, 16, 1                                 // 000000005C34: D1C800E2 02052147
	v_add3_u32 v226, v71, v226, v229                           // 000000005C3C: D1FF00E2 0797C547
	v_cndmask_b32_e64 v33, v226, v228, s[74:75]                // 000000005C44: D1000021 012BC9E2
	v_and_or_b32 v173, v33, v227, v32                          // 000000005C4C: D20100AD 0483C721
	v_cmp_u_f32_e64 s[74:75], v72, v72                         // 000000005C54: D048004A 00029148
	v_bfe_u32 v226, v72, 16, 1                                 // 000000005C5C: D1C800E2 02052148
	v_add3_u32 v226, v72, v226, v229                           // 000000005C64: D1FF00E2 0797C548
	v_cndmask_b32_e64 v32, v226, v228, s[74:75]                // 000000005C6C: D1000020 012BC9E2
	v_lshrrev_b32_e32 v32, 16, v32                             // 000000005C74: 20404090
	v_cmp_u_f32_e64 s[74:75], v73, v73                         // 000000005C78: D048004A 00029349
	v_bfe_u32 v226, v73, 16, 1                                 // 000000005C80: D1C800E2 02052149
	v_add3_u32 v226, v73, v226, v229                           // 000000005C88: D1FF00E2 0797C549
	v_cndmask_b32_e64 v33, v226, v228, s[74:75]                // 000000005C90: D1000021 012BC9E2
	v_and_or_b32 v174, v33, v227, v32                          // 000000005C98: D20100AE 0483C721
	v_cmp_u_f32_e64 s[74:75], v74, v74                         // 000000005CA0: D048004A 0002954A
	v_bfe_u32 v226, v74, 16, 1                                 // 000000005CA8: D1C800E2 0205214A
	v_add3_u32 v226, v74, v226, v229                           // 000000005CB0: D1FF00E2 0797C54A
	v_cndmask_b32_e64 v32, v226, v228, s[74:75]                // 000000005CB8: D1000020 012BC9E2
	v_lshrrev_b32_e32 v32, 16, v32                             // 000000005CC0: 20404090
	v_cmp_u_f32_e64 s[74:75], v75, v75                         // 000000005CC4: D048004A 0002974B
	v_bfe_u32 v226, v75, 16, 1                                 // 000000005CCC: D1C800E2 0205214B
	v_add3_u32 v226, v75, v226, v229                           // 000000005CD4: D1FF00E2 0797C54B
	v_cndmask_b32_e64 v33, v226, v228, s[74:75]                // 000000005CDC: D1000021 012BC9E2
	v_and_or_b32 v175, v33, v227, v32                          // 000000005CE4: D20100AF 0483C721
	v_mfma_f32_16x16x16_bf16 v[96:99], v[120:121], a[92:93], v[96:99]// 000000005CEC: D3E10060 1582B978
	s_add_u32 s32, s66, s32                                    // 000000005CF4: 80202042
	s_addc_u32 s33, 0, s33                                     // 000000005CF8: 82212180
	v_mfma_f32_16x16x16_bf16 v[96:99], v[122:123], a[94:95], v[96:99]// 000000005CFC: D3E10060 1582BD7A
	s_waitcnt lgkmcnt(0)                                       // 000000005D04: BF8CC07F
	s_barrier                                                  // 000000005D08: BF8A0000
	v_mfma_f32_16x16x16_bf16 v[178:181], v[124:125], v[164:165], v[178:181]// 000000005D0C: D3E100B2 06CB497C
	v_subrev_f32_dpp v76, v176, v76 quad_perm:[0,0,0,0] row_mask:0xf bank_mask:0xf// 000000005D14: 069898FA FF0000B0
	v_subrev_f32_dpp v77, v176, v77 quad_perm:[1,1,1,1] row_mask:0xf bank_mask:0xf// 000000005D1C: 069A9AFA FF0055B0
	v_subrev_f32_dpp v78, v176, v78 quad_perm:[2,2,2,2] row_mask:0xf bank_mask:0xf// 000000005D24: 069C9CFA FF00AAB0
	v_subrev_f32_dpp v79, v176, v79 quad_perm:[3,3,3,3] row_mask:0xf bank_mask:0xf// 000000005D2C: 069E9EFA FF00FFB0
	v_subrev_f32_dpp v80, v176, v80 quad_perm:[0,0,0,0] row_mask:0xf bank_mask:0xf// 000000005D34: 06A0A0FA FF0000B0
	v_subrev_f32_dpp v81, v176, v81 quad_perm:[1,1,1,1] row_mask:0xf bank_mask:0xf// 000000005D3C: 06A2A2FA FF0055B0
	v_mfma_f32_16x16x16_bf16 v[182:185], v[126:127], v[164:165], v[182:185]// 000000005D44: D3E100B6 06DB497E
	v_subrev_f32_dpp v82, v176, v82 quad_perm:[2,2,2,2] row_mask:0xf bank_mask:0xf// 000000005D4C: 06A4A4FA FF00AAB0
	v_subrev_f32_dpp v83, v176, v83 quad_perm:[3,3,3,3] row_mask:0xf bank_mask:0xf// 000000005D54: 06A6A6FA FF00FFB0
	v_subrev_f32_dpp v84, v176, v84 quad_perm:[0,0,0,0] row_mask:0xf bank_mask:0xf// 000000005D5C: 06A8A8FA FF0000B0
	v_subrev_f32_dpp v85, v176, v85 quad_perm:[1,1,1,1] row_mask:0xf bank_mask:0xf// 000000005D64: 06AAAAFA FF0055B0
	v_subrev_f32_dpp v86, v176, v86 quad_perm:[2,2,2,2] row_mask:0xf bank_mask:0xf// 000000005D6C: 06ACACFA FF00AAB0
	v_subrev_f32_dpp v87, v176, v87 quad_perm:[3,3,3,3] row_mask:0xf bank_mask:0xf// 000000005D74: 06AEAEFA FF00FFB0
	v_mfma_f32_16x16x16_bf16 v[186:189], v[128:129], v[164:165], v[186:189]// 000000005D7C: D3E100BA 06EB4980
	v_mul_f32_e32 v76, v52, v76                                // 000000005D84: 0A989934
	v_mul_f32_e32 v77, v53, v77                                // 000000005D88: 0A9A9B35
	v_mul_f32_e32 v78, v54, v78                                // 000000005D8C: 0A9C9D36
	v_mul_f32_e32 v79, v55, v79                                // 000000005D90: 0A9E9F37
	v_mul_f32_e32 v80, v56, v80                                // 000000005D94: 0AA0A138
	v_mul_f32_e32 v81, v57, v81                                // 000000005D98: 0AA2A339
	v_mfma_f32_16x16x16_bf16 v[190:193], v[130:131], v[164:165], v[190:193]// 000000005D9C: D3E100BE 06FB4982
	v_mul_f32_e32 v82, v58, v82                                // 000000005DA4: 0AA4A53A
	v_mul_f32_e32 v83, v59, v83                                // 000000005DA8: 0AA6A73B
	v_mul_f32_e32 v84, v60, v84                                // 000000005DAC: 0AA8A93C
	v_mul_f32_e32 v85, v61, v85                                // 000000005DB0: 0AAAAB3D
	v_mul_f32_e32 v86, v62, v86                                // 000000005DB4: 0AACAD3E
	v_mul_f32_e32 v87, v63, v87                                // 000000005DB8: 0AAEAF3F
	v_mfma_f32_16x16x16_bf16 v[194:197], v[124:125], v[166:167], v[194:197]// 000000005DBC: D3E100C2 070B4D7C
	v_cmp_u_f32_e64 s[74:75], v76, v76                         // 000000005DC4: D048004A 0002994C
	v_bfe_u32 v226, v76, 16, 1                                 // 000000005DCC: D1C800E2 0205214C
	v_add3_u32 v226, v76, v226, v229                           // 000000005DD4: D1FF00E2 0797C54C
	v_cndmask_b32_e64 v32, v226, v228, s[74:75]                // 000000005DDC: D1000020 012BC9E2
	v_lshrrev_b32_e32 v32, 16, v32                             // 000000005DE4: 20404090
	v_cmp_u_f32_e64 s[74:75], v77, v77                         // 000000005DE8: D048004A 00029B4D
	v_bfe_u32 v226, v77, 16, 1                                 // 000000005DF0: D1C800E2 0205214D
	v_add3_u32 v226, v77, v226, v229                           // 000000005DF8: D1FF00E2 0797C54D
	v_cndmask_b32_e64 v33, v226, v228, s[74:75]                // 000000005E00: D1000021 012BC9E2
	v_and_or_b32 v76, v33, v227, v32                           // 000000005E08: D201004C 0483C721
	v_cmp_u_f32_e64 s[74:75], v78, v78                         // 000000005E10: D048004A 00029D4E
	v_bfe_u32 v226, v78, 16, 1                                 // 000000005E18: D1C800E2 0205214E
	v_add3_u32 v226, v78, v226, v229                           // 000000005E20: D1FF00E2 0797C54E
	v_cndmask_b32_e64 v32, v226, v228, s[74:75]                // 000000005E28: D1000020 012BC9E2
	v_lshrrev_b32_e32 v32, 16, v32                             // 000000005E30: 20404090
	v_cmp_u_f32_e64 s[74:75], v79, v79                         // 000000005E34: D048004A 00029F4F
	v_bfe_u32 v226, v79, 16, 1                                 // 000000005E3C: D1C800E2 0205214F
	v_add3_u32 v226, v79, v226, v229                           // 000000005E44: D1FF00E2 0797C54F
	v_cndmask_b32_e64 v33, v226, v228, s[74:75]                // 000000005E4C: D1000021 012BC9E2
	v_and_or_b32 v77, v33, v227, v32                           // 000000005E54: D201004D 0483C721
	v_cmp_u_f32_e64 s[74:75], v80, v80                         // 000000005E5C: D048004A 0002A150
	v_bfe_u32 v226, v80, 16, 1                                 // 000000005E64: D1C800E2 02052150
	v_add3_u32 v226, v80, v226, v229                           // 000000005E6C: D1FF00E2 0797C550
	v_cndmask_b32_e64 v32, v226, v228, s[74:75]                // 000000005E74: D1000020 012BC9E2
	v_lshrrev_b32_e32 v32, 16, v32                             // 000000005E7C: 20404090
	v_cmp_u_f32_e64 s[74:75], v81, v81                         // 000000005E80: D048004A 0002A351
	v_bfe_u32 v226, v81, 16, 1                                 // 000000005E88: D1C800E2 02052151
	v_add3_u32 v226, v81, v226, v229                           // 000000005E90: D1FF00E2 0797C551
	v_cndmask_b32_e64 v33, v226, v228, s[74:75]                // 000000005E98: D1000021 012BC9E2
	v_and_or_b32 v78, v33, v227, v32                           // 000000005EA0: D201004E 0483C721
	v_cmp_u_f32_e64 s[74:75], v82, v82                         // 000000005EA8: D048004A 0002A552
	v_bfe_u32 v226, v82, 16, 1                                 // 000000005EB0: D1C800E2 02052152
	v_add3_u32 v226, v82, v226, v229                           // 000000005EB8: D1FF00E2 0797C552
	v_cndmask_b32_e64 v32, v226, v228, s[74:75]                // 000000005EC0: D1000020 012BC9E2
	v_lshrrev_b32_e32 v32, 16, v32                             // 000000005EC8: 20404090
	v_cmp_u_f32_e64 s[74:75], v83, v83                         // 000000005ECC: D048004A 0002A753
	v_bfe_u32 v226, v83, 16, 1                                 // 000000005ED4: D1C800E2 02052153
	v_add3_u32 v226, v83, v226, v229                           // 000000005EDC: D1FF00E2 0797C553
	v_cndmask_b32_e64 v33, v226, v228, s[74:75]                // 000000005EE4: D1000021 012BC9E2
	v_and_or_b32 v79, v33, v227, v32                           // 000000005EEC: D201004F 0483C721
	v_cmp_u_f32_e64 s[74:75], v84, v84                         // 000000005EF4: D048004A 0002A954
	v_bfe_u32 v226, v84, 16, 1                                 // 000000005EFC: D1C800E2 02052154
	v_add3_u32 v226, v84, v226, v229                           // 000000005F04: D1FF00E2 0797C554
	v_cndmask_b32_e64 v32, v226, v228, s[74:75]                // 000000005F0C: D1000020 012BC9E2
	v_lshrrev_b32_e32 v32, 16, v32                             // 000000005F14: 20404090
	v_cmp_u_f32_e64 s[74:75], v85, v85                         // 000000005F18: D048004A 0002AB55
	v_bfe_u32 v226, v85, 16, 1                                 // 000000005F20: D1C800E2 02052155
	v_add3_u32 v226, v85, v226, v229                           // 000000005F28: D1FF00E2 0797C555
	v_cndmask_b32_e64 v33, v226, v228, s[74:75]                // 000000005F30: D1000021 012BC9E2
	v_and_or_b32 v80, v33, v227, v32                           // 000000005F38: D2010050 0483C721
	v_cmp_u_f32_e64 s[74:75], v86, v86                         // 000000005F40: D048004A 0002AD56
	v_bfe_u32 v226, v86, 16, 1                                 // 000000005F48: D1C800E2 02052156
	v_add3_u32 v226, v86, v226, v229                           // 000000005F50: D1FF00E2 0797C556
	v_cndmask_b32_e64 v32, v226, v228, s[74:75]                // 000000005F58: D1000020 012BC9E2
	v_lshrrev_b32_e32 v32, 16, v32                             // 000000005F60: 20404090
	v_cmp_u_f32_e64 s[74:75], v87, v87                         // 000000005F64: D048004A 0002AF57
	v_bfe_u32 v226, v87, 16, 1                                 // 000000005F6C: D1C800E2 02052157
	v_add3_u32 v226, v87, v226, v229                           // 000000005F74: D1FF00E2 0797C557
	v_cndmask_b32_e64 v33, v226, v228, s[74:75]                // 000000005F7C: D1000021 012BC9E2
	v_and_or_b32 v81, v33, v227, v32                           // 000000005F84: D2010051 0483C721
	v_mfma_f32_16x16x16_bf16 v[198:201], v[126:127], v[166:167], v[198:201]// 000000005F8C: D3E100C6 071B4D7E
	v_mov_b32_dpp v22, v76 quad_perm:[1,0,3,2] row_mask:0xf bank_mask:0xf// 000000005F94: 7E2C02FA FF00B14C
	v_perm_b32 v52, v22, v76, v21                              // 000000005F9C: D1ED0034 04569916
	v_mov_b32_dpp v22, v77 quad_perm:[1,0,3,2] row_mask:0xf bank_mask:0xf// 000000005FA4: 7E2C02FA FF00B14D
	v_perm_b32 v53, v22, v77, v21                              // 000000005FAC: D1ED0035 04569B16
	v_mov_b32_dpp v22, v78 quad_perm:[1,0,3,2] row_mask:0xf bank_mask:0xf// 000000005FB4: 7E2C02FA FF00B14E
	v_perm_b32 v54, v22, v78, v21                              // 000000005FBC: D1ED0036 04569D16
	v_mfma_f32_16x16x16_bf16 v[202:205], v[128:129], v[166:167], v[202:205]// 000000005FC4: D3E100CA 072B4D80
	v_mov_b32_dpp v22, v79 quad_perm:[1,0,3,2] row_mask:0xf bank_mask:0xf// 000000005FCC: 7E2C02FA FF00B14F
	v_perm_b32 v55, v22, v79, v21                              // 000000005FD4: D1ED0037 04569F16
	v_mov_b32_dpp v22, v80 quad_perm:[1,0,3,2] row_mask:0xf bank_mask:0xf// 000000005FDC: 7E2C02FA FF00B150
	v_perm_b32 v56, v22, v80, v21                              // 000000005FE4: D1ED0038 0456A116
	v_mov_b32_dpp v22, v81 quad_perm:[1,0,3,2] row_mask:0xf bank_mask:0xf// 000000005FEC: 7E2C02FA FF00B151
	v_perm_b32 v57, v22, v81, v21                              // 000000005FF4: D1ED0039 0456A316
	v_mfma_f32_16x16x16_bf16 v[206:209], v[130:131], v[166:167], v[206:209]// 000000005FFC: D3E100CE 073B4D82
	ds_write_b32 v24, v52 offset:17408                         // 000000006004: D81A4400 00003418
	ds_write_b32 v24, v53 offset:17952                         // 00000000600C: D81A4620 00003518
	v_mfma_f32_16x16x16_bf16 v[210:213], v[124:125], v[168:169], v[210:213]// 000000006014: D3E100D2 074B517C
	v_subrev_f32_dpp v88, v177, v88 quad_perm:[0,0,0,0] row_mask:0xf bank_mask:0xf// 00000000601C: 06B0B0FA FF0000B1
	v_subrev_f32_dpp v89, v177, v89 quad_perm:[1,1,1,1] row_mask:0xf bank_mask:0xf// 000000006024: 06B2B2FA FF0055B1
	v_subrev_f32_dpp v90, v177, v90 quad_perm:[2,2,2,2] row_mask:0xf bank_mask:0xf// 00000000602C: 06B4B4FA FF00AAB1
	v_subrev_f32_dpp v91, v177, v91 quad_perm:[3,3,3,3] row_mask:0xf bank_mask:0xf// 000000006034: 06B6B6FA FF00FFB1
	v_subrev_f32_dpp v92, v177, v92 quad_perm:[0,0,0,0] row_mask:0xf bank_mask:0xf// 00000000603C: 06B8B8FA FF0000B1
	v_subrev_f32_dpp v93, v177, v93 quad_perm:[1,1,1,1] row_mask:0xf bank_mask:0xf// 000000006044: 06BABAFA FF0055B1
	v_mfma_f32_16x16x16_bf16 v[214:217], v[126:127], v[168:169], v[214:217]// 00000000604C: D3E100D6 075B517E
	ds_write_b32 v24, v54 offset:19712                         // 000000006054: D81A4D00 00003618
	ds_write_b32 v24, v55 offset:20256                         // 00000000605C: D81A4F20 00003718
	v_mfma_f32_16x16x16_bf16 v[218:221], v[128:129], v[168:169], v[218:221]// 000000006064: D3E100DA 076B5180
	v_subrev_f32_dpp v94, v177, v94 quad_perm:[2,2,2,2] row_mask:0xf bank_mask:0xf// 00000000606C: 06BCBCFA FF00AAB1
	v_subrev_f32_dpp v95, v177, v95 quad_perm:[3,3,3,3] row_mask:0xf bank_mask:0xf// 000000006074: 06BEBEFA FF00FFB1
	v_subrev_f32_dpp v96, v177, v96 quad_perm:[0,0,0,0] row_mask:0xf bank_mask:0xf// 00000000607C: 06C0C0FA FF0000B1
	v_subrev_f32_dpp v97, v177, v97 quad_perm:[1,1,1,1] row_mask:0xf bank_mask:0xf// 000000006084: 06C2C2FA FF0055B1
	v_subrev_f32_dpp v98, v177, v98 quad_perm:[2,2,2,2] row_mask:0xf bank_mask:0xf// 00000000608C: 06C4C4FA FF00AAB1
	v_subrev_f32_dpp v99, v177, v99 quad_perm:[3,3,3,3] row_mask:0xf bank_mask:0xf// 000000006094: 06C6C6FA FF00FFB1
	v_mfma_f32_16x16x16_bf16 v[222:225], v[130:131], v[168:169], v[222:225]// 00000000609C: D3E100DE 077B5182
	ds_write_b32 v24, v56 offset:22016                         // 0000000060A4: D81A5600 00003818
	ds_write_b32 v24, v57 offset:22560                         // 0000000060AC: D81A5820 00003918
	v_mfma_f32_16x16x16_bf16 v[178:181], v[132:133], v[170:171], v[178:181]// 0000000060B4: D3E100B2 06CB5584
	v_mul_f32_e32 v88, v64, v88                                // 0000000060BC: 0AB0B140
	v_mul_f32_e32 v89, v65, v89                                // 0000000060C0: 0AB2B341
	v_mul_f32_e32 v90, v66, v90                                // 0000000060C4: 0AB4B542
	v_mul_f32_e32 v91, v67, v91                                // 0000000060C8: 0AB6B743
	v_mul_f32_e32 v92, v68, v92                                // 0000000060CC: 0AB8B944
	v_mul_f32_e32 v93, v69, v93                                // 0000000060D0: 0ABABB45
	v_mfma_f32_16x16x16_bf16 v[182:185], v[134:135], v[170:171], v[182:185]// 0000000060D4: D3E100B6 06DB5586
	v_mul_f32_e32 v94, v70, v94                                // 0000000060DC: 0ABCBD46
	v_mul_f32_e32 v95, v71, v95                                // 0000000060E0: 0ABEBF47
	v_mul_f32_e32 v96, v72, v96                                // 0000000060E4: 0AC0C148
	v_mul_f32_e32 v97, v73, v97                                // 0000000060E8: 0AC2C349
	v_mul_f32_e32 v98, v74, v98                                // 0000000060EC: 0AC4C54A
	v_mul_f32_e32 v99, v75, v99                                // 0000000060F0: 0AC6C74B
	v_mfma_f32_16x16x16_bf16 v[186:189], v[136:137], v[170:171], v[186:189]// 0000000060F4: D3E100BA 06EB5588
	v_cmp_u_f32_e64 s[74:75], v88, v88                         // 0000000060FC: D048004A 0002B158
	v_bfe_u32 v226, v88, 16, 1                                 // 000000006104: D1C800E2 02052158
	v_add3_u32 v226, v88, v226, v229                           // 00000000610C: D1FF00E2 0797C558
	v_cndmask_b32_e64 v32, v226, v228, s[74:75]                // 000000006114: D1000020 012BC9E2
	v_lshrrev_b32_e32 v32, 16, v32                             // 00000000611C: 20404090
	v_cmp_u_f32_e64 s[74:75], v89, v89                         // 000000006120: D048004A 0002B359
	v_bfe_u32 v226, v89, 16, 1                                 // 000000006128: D1C800E2 02052159
	v_add3_u32 v226, v89, v226, v229                           // 000000006130: D1FF00E2 0797C559
	v_cndmask_b32_e64 v33, v226, v228, s[74:75]                // 000000006138: D1000021 012BC9E2
	v_and_or_b32 v82, v33, v227, v32                           // 000000006140: D2010052 0483C721
	v_cmp_u_f32_e64 s[74:75], v90, v90                         // 000000006148: D048004A 0002B55A
	v_bfe_u32 v226, v90, 16, 1                                 // 000000006150: D1C800E2 0205215A
	v_add3_u32 v226, v90, v226, v229                           // 000000006158: D1FF00E2 0797C55A
	v_cndmask_b32_e64 v32, v226, v228, s[74:75]                // 000000006160: D1000020 012BC9E2
	v_lshrrev_b32_e32 v32, 16, v32                             // 000000006168: 20404090
	v_cmp_u_f32_e64 s[74:75], v91, v91                         // 00000000616C: D048004A 0002B75B
	v_bfe_u32 v226, v91, 16, 1                                 // 000000006174: D1C800E2 0205215B
	v_add3_u32 v226, v91, v226, v229                           // 00000000617C: D1FF00E2 0797C55B
	v_cndmask_b32_e64 v33, v226, v228, s[74:75]                // 000000006184: D1000021 012BC9E2
	v_and_or_b32 v83, v33, v227, v32                           // 00000000618C: D2010053 0483C721
	v_cmp_u_f32_e64 s[74:75], v92, v92                         // 000000006194: D048004A 0002B95C
	v_bfe_u32 v226, v92, 16, 1                                 // 00000000619C: D1C800E2 0205215C
	v_add3_u32 v226, v92, v226, v229                           // 0000000061A4: D1FF00E2 0797C55C
	v_cndmask_b32_e64 v32, v226, v228, s[74:75]                // 0000000061AC: D1000020 012BC9E2
	v_lshrrev_b32_e32 v32, 16, v32                             // 0000000061B4: 20404090
	v_cmp_u_f32_e64 s[74:75], v93, v93                         // 0000000061B8: D048004A 0002BB5D
	v_bfe_u32 v226, v93, 16, 1                                 // 0000000061C0: D1C800E2 0205215D
	v_add3_u32 v226, v93, v226, v229                           // 0000000061C8: D1FF00E2 0797C55D
	v_cndmask_b32_e64 v33, v226, v228, s[74:75]                // 0000000061D0: D1000021 012BC9E2
	v_and_or_b32 v84, v33, v227, v32                           // 0000000061D8: D2010054 0483C721
	v_cmp_u_f32_e64 s[74:75], v94, v94                         // 0000000061E0: D048004A 0002BD5E
	v_bfe_u32 v226, v94, 16, 1                                 // 0000000061E8: D1C800E2 0205215E
	v_add3_u32 v226, v94, v226, v229                           // 0000000061F0: D1FF00E2 0797C55E
	v_cndmask_b32_e64 v32, v226, v228, s[74:75]                // 0000000061F8: D1000020 012BC9E2
	v_lshrrev_b32_e32 v32, 16, v32                             // 000000006200: 20404090
	v_cmp_u_f32_e64 s[74:75], v95, v95                         // 000000006204: D048004A 0002BF5F
	v_bfe_u32 v226, v95, 16, 1                                 // 00000000620C: D1C800E2 0205215F
	v_add3_u32 v226, v95, v226, v229                           // 000000006214: D1FF00E2 0797C55F
	v_cndmask_b32_e64 v33, v226, v228, s[74:75]                // 00000000621C: D1000021 012BC9E2
	v_and_or_b32 v85, v33, v227, v32                           // 000000006224: D2010055 0483C721
	v_cmp_u_f32_e64 s[74:75], v96, v96                         // 00000000622C: D048004A 0002C160
	v_bfe_u32 v226, v96, 16, 1                                 // 000000006234: D1C800E2 02052160
	v_add3_u32 v226, v96, v226, v229                           // 00000000623C: D1FF00E2 0797C560
	v_cndmask_b32_e64 v32, v226, v228, s[74:75]                // 000000006244: D1000020 012BC9E2
	v_lshrrev_b32_e32 v32, 16, v32                             // 00000000624C: 20404090
	v_cmp_u_f32_e64 s[74:75], v97, v97                         // 000000006250: D048004A 0002C361
	v_bfe_u32 v226, v97, 16, 1                                 // 000000006258: D1C800E2 02052161
	v_add3_u32 v226, v97, v226, v229                           // 000000006260: D1FF00E2 0797C561
	v_cndmask_b32_e64 v33, v226, v228, s[74:75]                // 000000006268: D1000021 012BC9E2
	v_and_or_b32 v86, v33, v227, v32                           // 000000006270: D2010056 0483C721
	v_cmp_u_f32_e64 s[74:75], v98, v98                         // 000000006278: D048004A 0002C562
	v_bfe_u32 v226, v98, 16, 1                                 // 000000006280: D1C800E2 02052162
	v_add3_u32 v226, v98, v226, v229                           // 000000006288: D1FF00E2 0797C562
	v_cndmask_b32_e64 v32, v226, v228, s[74:75]                // 000000006290: D1000020 012BC9E2
	v_lshrrev_b32_e32 v32, 16, v32                             // 000000006298: 20404090
	v_cmp_u_f32_e64 s[74:75], v99, v99                         // 00000000629C: D048004A 0002C763
	v_bfe_u32 v226, v99, 16, 1                                 // 0000000062A4: D1C800E2 02052163
	v_add3_u32 v226, v99, v226, v229                           // 0000000062AC: D1FF00E2 0797C563
	v_cndmask_b32_e64 v33, v226, v228, s[74:75]                // 0000000062B4: D1000021 012BC9E2
	v_and_or_b32 v87, v33, v227, v32                           // 0000000062BC: D2010057 0483C721
	v_mfma_f32_16x16x16_bf16 v[190:193], v[138:139], v[170:171], v[190:193]// 0000000062C4: D3E100BE 06FB558A
	v_mov_b32_dpp v22, v82 quad_perm:[1,0,3,2] row_mask:0xf bank_mask:0xf// 0000000062CC: 7E2C02FA FF00B152
	v_perm_b32 v58, v22, v82, v21                              // 0000000062D4: D1ED003A 0456A516
	v_mov_b32_dpp v22, v83 quad_perm:[1,0,3,2] row_mask:0xf bank_mask:0xf// 0000000062DC: 7E2C02FA FF00B153
	v_perm_b32 v59, v22, v83, v21                              // 0000000062E4: D1ED003B 0456A716
	v_mov_b32_dpp v22, v84 quad_perm:[1,0,3,2] row_mask:0xf bank_mask:0xf// 0000000062EC: 7E2C02FA FF00B154
	v_perm_b32 v60, v22, v84, v21                              // 0000000062F4: D1ED003C 0456A916
	v_mfma_f32_16x16x16_bf16 v[194:197], v[132:133], v[172:173], v[194:197]// 0000000062FC: D3E100C2 070B5984
	v_mov_b32_dpp v22, v85 quad_perm:[1,0,3,2] row_mask:0xf bank_mask:0xf// 000000006304: 7E2C02FA FF00B155
	v_perm_b32 v61, v22, v85, v21                              // 00000000630C: D1ED003D 0456AB16
	v_mov_b32_dpp v22, v86 quad_perm:[1,0,3,2] row_mask:0xf bank_mask:0xf// 000000006314: 7E2C02FA FF00B156
	v_perm_b32 v62, v22, v86, v21                              // 00000000631C: D1ED003E 0456AD16
	v_mov_b32_dpp v22, v87 quad_perm:[1,0,3,2] row_mask:0xf bank_mask:0xf// 000000006324: 7E2C02FA FF00B157
	v_perm_b32 v63, v22, v87, v21                              // 00000000632C: D1ED003F 0456AF16
	v_mfma_f32_16x16x16_bf16 v[198:201], v[134:135], v[172:173], v[198:201]// 000000006334: D3E100C6 071B5986
	ds_write_b32 v24, v58 offset:24320                         // 00000000633C: D81A5F00 00003A18
	ds_write_b32 v24, v59 offset:24864                         // 000000006344: D81A6120 00003B18
	v_mfma_f32_16x16x16_bf16 v[202:205], v[136:137], v[172:173], v[202:205]// 00000000634C: D3E100CA 072B5988
	v_mfma_f32_16x16x16_bf16 v[206:209], v[138:139], v[172:173], v[206:209]// 000000006354: D3E100CE 073B598A
	ds_write_b32 v24, v60 offset:26624                         // 00000000635C: D81A6800 00003C18
	ds_write_b32 v24, v61 offset:27168                         // 000000006364: D81A6A20 00003D18
	ds_write_b32 v24, v62 offset:28928                         // 00000000636C: D81A7100 00003E18
	ds_write_b32 v24, v63 offset:29472                         // 000000006374: D81A7320 00003F18
	v_mfma_f32_16x16x16_bf16 v[210:213], v[132:133], v[174:175], v[210:213]// 00000000637C: D3E100D2 074B5D84
	v_mfma_f32_16x16x16_bf16 v[214:217], v[134:135], v[174:175], v[214:217]// 000000006384: D3E100D6 075B5D86
	ds_write_b32 v19, v100 offset:4352                         // 00000000638C: D81A1100 00006413
	ds_write_b32 v19, v101 offset:5408                         // 000000006394: D81A1520 00006513
	v_mfma_f32_16x16x16_bf16 v[218:221], v[136:137], v[174:175], v[218:221]// 00000000639C: D3E100DA 076B5D88
	s_nop 0                                                    // 0000000063A4: BF800000
	s_nop 0                                                    // 0000000063A8: BF800000
	s_nop 0                                                    // 0000000063AC: BF800000
	v_mfma_f32_16x16x16_bf16 v[222:225], v[138:139], v[174:175], v[222:225]// 0000000063B0: D3E100DE 077B5D8A
	ds_write_b32 v19, v102 offset:6528                         // 0000000063B8: D81A1980 00006613
	ds_write_b32 v19, v103 offset:7584                         // 0000000063C0: D81A1DA0 00006713
	s_barrier                                                  // 0000000063C8: BF8A0000
	v_mfma_f32_16x16x16_bf16 a[112:115], a[96:97], v[76:77], a[112:115]// 0000000063CC: D3E18070 0DC29960
	global_atomic_pk_add_bf16 v6, v156, s[32:33]               // 0000000063D4: DD488000 00209C06
	v_mfma_f32_16x16x16_bf16 a[116:119], a[98:99], v[76:77], a[116:119]// 0000000063DC: D3E18074 0DD29962
	ds_read_b32 v140, v27 offset:36096                         // 0000000063E4: D86C8D00 8C00001B
	ds_read_b32 v144, v27 offset:36160                         // 0000000063EC: D86C8D40 9000001B
	ds_read_b32 v176, v27 offset:36352                         // 0000000063F4: D86C8E00 B000001B
	ds_read_b32 v177, v27 offset:36416                         // 0000000063FC: D86C8E40 B100001B
	v_mfma_f32_16x16x16_bf16 a[120:123], a[100:101], v[76:77], a[120:123]// 000000006404: D3E18078 0DE29964
	s_waitcnt lgkmcnt(8)                                       // 00000000640C: BF8CC87F
	s_barrier                                                  // 000000006410: BF8A0000
	v_mfma_f32_16x16x16_bf16 a[124:127], a[102:103], v[76:77], a[124:127]// 000000006414: D3E1807C 0DF29966
	ds_read_b128 v[52:55], v23 offset:17408                    // 00000000641C: D9FE4400 34000017
	v_mfma_f32_16x16x16_bf16 a[128:131], a[96:97], v[78:79], a[128:131]// 000000006424: D3E18080 0E029D60
	v_mfma_f32_16x16x16_bf16 a[132:135], a[98:99], v[78:79], a[132:135]// 00000000642C: D3E18084 0E129D62
	ds_read_b128 v[56:59], v23 offset:18560                    // 000000006434: D9FE4880 38000017
	v_mfma_f32_16x16x16_bf16 a[136:139], a[100:101], v[78:79], a[136:139]// 00000000643C: D3E18088 0E229D64
	global_atomic_pk_add_bf16 v8, v157, s[32:33]               // 000000006444: DD488000 00209D08
	v_mfma_f32_16x16x16_bf16 a[140:143], a[102:103], v[78:79], a[140:143]// 00000000644C: D3E1808C 0E329D66
	ds_read_b128 v[60:63], v23 offset:19712                    // 000000006454: D9FE4D00 3C000017
	v_mfma_f32_16x16x16_bf16 a[144:147], a[96:97], v[80:81], a[144:147]// 00000000645C: D3E18090 0E42A160
	v_mfma_f32_16x16x16_bf16 a[148:151], a[98:99], v[80:81], a[148:151]// 000000006464: D3E18094 0E52A162
	ds_read_b128 v[64:67], v23 offset:20864                    // 00000000646C: D9FE5180 40000017
	v_mfma_f32_16x16x16_bf16 a[152:155], a[100:101], v[80:81], a[152:155]// 000000006474: D3E18098 0E62A164
	v_mfma_f32_16x16x16_bf16 a[156:159], a[102:103], v[80:81], a[156:159]// 00000000647C: D3E1809C 0E72A166
	ds_read_b128 v[68:71], v23 offset:22016                    // 000000006484: D9FE5600 44000017
	v_mfma_f32_16x16x16_bf16 a[112:115], a[104:105], v[82:83], a[112:115]// 00000000648C: D3E18070 0DC2A568
	global_atomic_pk_add_bf16 v10, v158, s[32:33]              // 000000006494: DD488000 00209E0A
	v_mfma_f32_16x16x16_bf16 a[116:119], a[106:107], v[82:83], a[116:119]// 00000000649C: D3E18074 0DD2A56A
	ds_read_b128 v[72:75], v23 offset:23168                    // 0000000064A4: D9FE5A80 48000017
	v_mfma_f32_16x16x16_bf16 a[120:123], a[108:109], v[82:83], a[120:123]// 0000000064AC: D3E18078 0DE2A56C
	v_mfma_f32_16x16x16_bf16 a[124:127], a[110:111], v[82:83], a[124:127]// 0000000064B4: D3E1807C 0DF2A56E
	ds_write_b32 v19, v104 offset:13056                        // 0000000064BC: D81A3300 00006813
	v_mfma_f32_16x16x16_bf16 a[128:131], a[104:105], v[84:85], a[128:131]// 0000000064C4: D3E18080 0E02A968
	v_mfma_f32_16x16x16_bf16 a[132:135], a[106:107], v[84:85], a[132:135]// 0000000064CC: D3E18084 0E12A96A
	ds_write_b32 v19, v105 offset:14112                        // 0000000064D4: D81A3720 00006913
	v_mfma_f32_16x16x16_bf16 a[136:139], a[108:109], v[84:85], a[136:139]// 0000000064DC: D3E18088 0E22A96C
	global_atomic_pk_add_bf16 v12, v159, s[32:33]              // 0000000064E4: DD488000 00209F0C
	v_mfma_f32_16x16x16_bf16 a[140:143], a[110:111], v[84:85], a[140:143]// 0000000064EC: D3E1808C 0E32A96E
	ds_write_b32 v19, v106 offset:15232                        // 0000000064F4: D81A3B80 00006A13
	v_mfma_f32_16x16x16_bf16 a[144:147], a[104:105], v[86:87], a[144:147]// 0000000064FC: D3E18090 0E42AD68
	v_mfma_f32_16x16x16_bf16 a[148:151], a[106:107], v[86:87], a[148:151]// 000000006504: D3E18094 0E52AD6A
	ds_write_b32 v19, v107 offset:16288                        // 00000000650C: D81A3FA0 00006B13
	v_mfma_f32_16x16x16_bf16 a[152:155], a[108:109], v[86:87], a[152:155]// 000000006514: D3E18098 0E62AD6C
	v_mfma_f32_16x16x16_bf16 a[156:159], a[110:111], v[86:87], a[156:159]// 00000000651C: D3E1809C 0E72AD6E
	s_waitcnt vmcnt(4) lgkmcnt(4)                              // 000000006524: BF8C0474
	s_barrier                                                  // 000000006528: BF8A0000
	v_mfma_f32_16x16x16_bf16 v[148:151], a[24:25], v[52:53], 0 // 00000000652C: D3E10094 0A026918
	v_mul_f32_e32 v140, s49, v140                              // 000000006534: 0B191831
	v_mul_f32_e32 v144, s49, v144                              // 000000006538: 0B212031
	s_nop 0                                                    // 00000000653C: BF800000
	v_mfma_f32_16x16x16_bf16 v[148:151], a[28:29], v[54:55], v[148:151]// 000000006540: D3E10094 0E526D1C
	ds_read_b128 a[96:99], v16                                 // 000000006548: DBFE0000 60000010
	buffer_load_dword v40, v1, s[8:11], 0 idxen                // 000000006550: E0502000 80022801
	v_mfma_f32_16x16x16_bf16 v[148:151], a[32:33], v[56:57], v[148:151]// 000000006558: D3E10094 0E527120
	v_mfma_f32_16x16x16_bf16 v[148:151], a[36:37], v[58:59], v[148:151]// 000000006560: D3E10094 0E527524
	ds_read_b128 a[100:103], v16 offset:512                    // 000000006568: DBFE0200 64000010
	buffer_load_dword v41, v2, s[8:11], 0 idxen                // 000000006570: E0502000 80022902
	v_mfma_f32_16x16x16_bf16 v[148:151], a[40:41], v[60:61], v[148:151]// 000000006578: D3E10094 0E527928
	v_perm_b32 v100, v37, v36, s63                             // 000000006580: D1ED0064 00FE4925
	v_perm_b32 v101, v37, v36, s64                             // 000000006588: D1ED0065 01024925
	v_mfma_f32_16x16x16_bf16 v[148:151], a[44:45], v[62:63], v[148:151]// 000000006590: D3E10094 0E527D2C
	ds_read_b128 a[104:107], v16 offset:2176                   // 000000006598: DBFE0880 68000010
	buffer_load_dword v42, v3, s[8:11], 0 idxen                // 0000000065A0: E0502000 80022A03
	v_mfma_f32_16x16x16_bf16 v[148:151], a[48:49], v[64:65], v[148:151]// 0000000065A8: D3E10094 0E528130
	v_perm_b32 v102, v39, v38, s63                             // 0000000065B0: D1ED0066 00FE4D27
	v_perm_b32 v103, v39, v38, s64                             // 0000000065B8: D1ED0067 01024D27
	v_mfma_f32_16x16x16_bf16 v[148:151], a[52:53], v[66:67], v[148:151]// 0000000065C0: D3E10094 0E528534
	ds_read_b128 a[108:111], v16 offset:2688                   // 0000000065C8: DBFE0A80 6C000010
	buffer_load_dword v43, v4, s[8:11], 0 idxen                // 0000000065D0: E0502000 80022B04
	v_mfma_f32_16x16x16_bf16 v[148:151], a[56:57], v[68:69], v[148:151]// 0000000065D8: D3E10094 0E528938
	v_perm_b32 v104, v45, v44, s63                             // 0000000065E0: D1ED0068 00FE592D
	v_perm_b32 v105, v45, v44, s64                             // 0000000065E8: D1ED0069 0102592D
	v_mfma_f32_16x16x16_bf16 v[148:151], a[60:61], v[70:71], v[148:151]// 0000000065F0: D3E10094 0E528D3C
	ds_read_b128 v[108:111], v16 offset:8704                   // 0000000065F8: D9FE2200 6C000010
	buffer_load_dword v48, v1, s[20:23], 0 idxen               // 000000006600: E0502000 80053001
	v_mfma_f32_16x16x16_bf16 v[148:151], a[64:65], v[72:73], v[148:151]// 000000006608: D3E10094 0E529140
	v_perm_b32 v106, v47, v46, s63                             // 000000006610: D1ED006A 00FE5D2F
	v_perm_b32 v107, v47, v46, s64                             // 000000006618: D1ED006B 01025D2F
	v_mfma_f32_16x16x16_bf16 v[148:151], a[68:69], v[74:75], v[148:151]// 000000006620: D3E10094 0E529544
	ds_read_b128 v[112:115], v16 offset:9216                   // 000000006628: D9FE2400 70000010
	buffer_load_dword v49, v2, s[20:23], 0 idxen               // 000000006630: E0502000 80053102
	v_mfma_f32_16x16x16_bf16 v[152:155], a[26:27], v[52:53], 0 // 000000006638: D3E10098 0A02691A
	v_mov_b32_dpp v143, v140 quad_perm:[3,3,3,3] row_mask:0xf bank_mask:0xf// 000000006640: 7F1E02FA FF00FF8C
	v_mov_b32_dpp v142, v140 quad_perm:[2,2,2,2] row_mask:0xf bank_mask:0xf// 000000006648: 7F1C02FA FF00AA8C
	v_mov_b32_dpp v141, v140 quad_perm:[1,1,1,1] row_mask:0xf bank_mask:0xf// 000000006650: 7F1A02FA FF00558C
	v_mov_b32_dpp v140, v140 quad_perm:[0,0,0,0] row_mask:0xf bank_mask:0xf// 000000006658: 7F1802FA FF00008C
	v_mfma_f32_16x16x16_bf16 v[152:155], a[30:31], v[54:55], v[152:155]// 000000006660: D3E10098 0E626D1E
	ds_read_b128 v[116:119], v16 offset:10880                  // 000000006668: D9FE2A80 74000010
	buffer_load_dword v50, v3, s[20:23], 0 idxen               // 000000006670: E0502000 80053203
	v_mfma_f32_16x16x16_bf16 v[152:155], a[34:35], v[56:57], v[152:155]// 000000006678: D3E10098 0E627122
	v_mov_b32_dpp v147, v144 quad_perm:[3,3,3,3] row_mask:0xf bank_mask:0xf// 000000006680: 7F2602FA FF00FF90
	v_mov_b32_dpp v146, v144 quad_perm:[2,2,2,2] row_mask:0xf bank_mask:0xf// 000000006688: 7F2402FA FF00AA90
	v_mov_b32_dpp v145, v144 quad_perm:[1,1,1,1] row_mask:0xf bank_mask:0xf// 000000006690: 7F2202FA FF005590
	v_mov_b32_dpp v144, v144 quad_perm:[0,0,0,0] row_mask:0xf bank_mask:0xf// 000000006698: 7F2002FA FF000090
	s_add_u32 s60, 0x80, s59                                   // 0000000066A0: 803C3BFF 00000080
	v_mfma_f32_16x16x16_bf16 v[152:155], a[38:39], v[58:59], v[152:155]// 0000000066A8: D3E10098 0E627526
	ds_read_b128 v[120:123], v16 offset:11392                  // 0000000066B0: D9FE2C80 78000010
	buffer_load_dword v51, v4, s[20:23], 0 idxen               // 0000000066B8: E0502000 80053304
	v_mfma_f32_16x16x16_bf16 v[152:155], a[42:43], v[60:61], v[152:155]// 0000000066C0: D3E10098 0E62792A
	s_cmp_lt_u32 s60, s58                                      // 0000000066C8: BF0A3A3C
	s_cselect_b32 s68, s68, 0                                  // 0000000066CC: 85448044
	s_cselect_b32 s69, s69, 0                                  // 0000000066D0: 85458045
	v_mfma_f32_16x16x16_bf16 v[152:155], a[46:47], v[62:63], v[152:155]// 0000000066D4: D3E10098 0E627D2E
	buffer_load_dword v15, s[24:27], 0 idxen lds               // 0000000066DC: E0512000 8006000F
	v_mfma_f32_16x16x16_bf16 v[152:155], a[50:51], v[64:65], v[152:155]// 0000000066E4: D3E10098 0E628132
	s_add_u32 s8, s68, s8                                      // 0000000066EC: 80080844
	s_addc_u32 s9, 0, s9                                       // 0000000066F0: 82090980
	v_mfma_f32_16x16x16_bf16 v[152:155], a[54:55], v[66:67], v[152:155]// 0000000066F4: D3E10098 0E628536
	s_add_u32 s20, s68, s20                                    // 0000000066FC: 80141444
	s_addc_u32 s21, 0, s21                                     // 000000006700: 82151580
	v_mfma_f32_16x16x16_bf16 v[152:155], a[58:59], v[68:69], v[152:155]// 000000006704: D3E10098 0E62893A
	s_mov_b32 m0, s76                                          // 00000000670C: BEFC004C
	v_add_u32_e32 v15, s69, v15                                // 000000006710: 681E1E45
	v_mfma_f32_16x16x16_bf16 v[152:155], a[62:63], v[70:71], v[152:155]// 000000006714: D3E10098 0E628D3E
	s_cmp_ge_u32 s59, 32                                       // 00000000671C: BF09A03B
	s_cselect_b32 s66, s67, s66                                // 000000006720: 85424243
	v_mfma_f32_16x16x16_bf16 v[152:155], a[66:67], v[72:73], v[152:155]// 000000006724: D3E10098 0E629142
	s_addk_i32 s59, 0x20                                       // 00000000672C: B73B0020
	s_nop 0                                                    // 000000006730: BF800000
	s_cmp_lt_i32 s59, s58                                      // 000000006734: BF043A3B
	v_mfma_f32_16x16x16_bf16 v[152:155], a[70:71], v[74:75], v[152:155]// 000000006738: D3E10098 0E629546
	s_cbranch_scc0 label_0F0D                                  // 000000006740: BF8404BC
	s_waitcnt lgkmcnt(4)                                       // 000000006744: BF8CC47F
	s_barrier                                                  // 000000006748: BF8A0000
	v_mfma_f32_16x16x16_bf16 v[52:55], a[96:97], a[0:1], 0     // 00000000674C: D3E10034 1A020160
	ds_write_b32 v17, v44 offset:8704                          // 000000006754: D81A2200 00002C11
	ds_write_b32 v17, v45 offset:9760                          // 00000000675C: D81A2620 00002D11
	v_mfma_f32_16x16x16_bf16 v[52:55], a[98:99], a[2:3], v[52:55]// 000000006764: D3E10034 1CD20562
	v_mul_f32_e32 v148, s48, v148                              // 00000000676C: 0B292830
	v_mul_f32_e32 v149, s48, v149                              // 000000006770: 0B2B2A30
	v_mfma_f32_16x16x16_bf16 v[52:55], a[100:101], a[4:5], v[52:55]// 000000006774: D3E10034 1CD20964
	ds_write_b32 v17, v46 offset:10880                         // 00000000677C: D81A2A80 00002E11
	ds_write_b32 v17, v47 offset:11936                         // 000000006784: D81A2EA0 00002F11
	v_mfma_f32_16x16x16_bf16 v[52:55], a[102:103], a[6:7], v[52:55]// 00000000678C: D3E10034 1CD20D66
	v_mul_f32_e32 v150, s48, v150                              // 000000006794: 0B2D2C30
	v_mul_f32_e32 v151, s48, v151                              // 000000006798: 0B2F2E30
	v_mfma_f32_16x16x16_bf16 v[56:59], a[96:97], a[8:9], 0     // 00000000679C: D3E10038 1A021160
	v_mul_f32_e32 v152, s48, v152                              // 0000000067A4: 0B313030
	v_mul_f32_e32 v153, s48, v153                              // 0000000067A8: 0B333230
	v_mfma_f32_16x16x16_bf16 v[56:59], a[98:99], a[10:11], v[56:59]// 0000000067AC: D3E10038 1CE21562
	v_mul_f32_e32 v154, s48, v154                              // 0000000067B4: 0B353430
	v_mul_f32_e32 v155, s48, v155                              // 0000000067B8: 0B373630
	v_mfma_f32_16x16x16_bf16 v[56:59], a[100:101], a[12:13], v[56:59]// 0000000067BC: D3E10038 1CE21964
	v_cmp_u_f32_e64 s[74:75], v148, v148                       // 0000000067C4: D048004A 00032994
	v_bfe_u32 v226, v148, 16, 1                                // 0000000067CC: D1C800E2 02052194
	v_add3_u32 v226, v148, v226, v229                          // 0000000067D4: D1FF00E2 0797C594
	v_cndmask_b32_e64 v32, v226, v228, s[74:75]                // 0000000067DC: D1000020 012BC9E2
	v_lshrrev_b32_e32 v32, 16, v32                             // 0000000067E4: 20404090
	v_cmp_u_f32_e64 s[74:75], v149, v149                       // 0000000067E8: D048004A 00032B95
	v_bfe_u32 v226, v149, 16, 1                                // 0000000067F0: D1C800E2 02052195
	v_add3_u32 v226, v149, v226, v229                          // 0000000067F8: D1FF00E2 0797C595
	v_cndmask_b32_e64 v33, v226, v228, s[74:75]                // 000000006800: D1000021 012BC9E2
	v_and_or_b32 v148, v33, v227, v32                          // 000000006808: D2010094 0483C721
	v_cmp_u_f32_e64 s[74:75], v150, v150                       // 000000006810: D048004A 00032D96
	v_bfe_u32 v226, v150, 16, 1                                // 000000006818: D1C800E2 02052196
	v_add3_u32 v226, v150, v226, v229                          // 000000006820: D1FF00E2 0797C596
	v_cndmask_b32_e64 v32, v226, v228, s[74:75]                // 000000006828: D1000020 012BC9E2
	v_lshrrev_b32_e32 v32, 16, v32                             // 000000006830: 20404090
	v_cmp_u_f32_e64 s[74:75], v151, v151                       // 000000006834: D048004A 00032F97
	v_bfe_u32 v226, v151, 16, 1                                // 00000000683C: D1C800E2 02052197
	v_add3_u32 v226, v151, v226, v229                          // 000000006844: D1FF00E2 0797C597
	v_cndmask_b32_e64 v33, v226, v228, s[74:75]                // 00000000684C: D1000021 012BC9E2
	v_and_or_b32 v149, v33, v227, v32                          // 000000006854: D2010095 0483C721
	v_mfma_f32_16x16x16_bf16 v[56:59], a[102:103], a[14:15], v[56:59]// 00000000685C: D3E10038 1CE21D66
	v_cmp_u_f32_e64 s[74:75], v152, v152                       // 000000006864: D048004A 00033198
	v_bfe_u32 v226, v152, 16, 1                                // 00000000686C: D1C800E2 02052198
	v_add3_u32 v226, v152, v226, v229                          // 000000006874: D1FF00E2 0797C598
	v_cndmask_b32_e64 v32, v226, v228, s[74:75]                // 00000000687C: D1000020 012BC9E2
	v_lshrrev_b32_e32 v32, 16, v32                             // 000000006884: 20404090
	v_cmp_u_f32_e64 s[74:75], v153, v153                       // 000000006888: D048004A 00033399
	v_bfe_u32 v226, v153, 16, 1                                // 000000006890: D1C800E2 02052199
	v_add3_u32 v226, v153, v226, v229                          // 000000006898: D1FF00E2 0797C599
	v_cndmask_b32_e64 v33, v226, v228, s[74:75]                // 0000000068A0: D1000021 012BC9E2
	v_and_or_b32 v150, v33, v227, v32                          // 0000000068A8: D2010096 0483C721
	v_cmp_u_f32_e64 s[74:75], v154, v154                       // 0000000068B0: D048004A 0003359A
	v_bfe_u32 v226, v154, 16, 1                                // 0000000068B8: D1C800E2 0205219A
	v_add3_u32 v226, v154, v226, v229                          // 0000000068C0: D1FF00E2 0797C59A
	v_cndmask_b32_e64 v32, v226, v228, s[74:75]                // 0000000068C8: D1000020 012BC9E2
	v_lshrrev_b32_e32 v32, 16, v32                             // 0000000068D0: 20404090
	v_cmp_u_f32_e64 s[74:75], v155, v155                       // 0000000068D4: D048004A 0003379B
	v_bfe_u32 v226, v155, 16, 1                                // 0000000068DC: D1C800E2 0205219B
	v_add3_u32 v226, v155, v226, v229                          // 0000000068E4: D1FF00E2 0797C59B
	v_cndmask_b32_e64 v33, v226, v228, s[74:75]                // 0000000068EC: D1000021 012BC9E2
	v_and_or_b32 v151, v33, v227, v32                          // 0000000068F4: D2010097 0483C721
	v_mfma_f32_16x16x16_bf16 v[60:63], a[96:97], a[16:17], 0   // 0000000068FC: D3E1003C 1A022160
	ds_write_b64 v26, v[148:149] offset:31232                  // 000000006904: D89A7A00 0000941A
	v_mfma_f32_16x16x16_bf16 v[60:63], a[98:99], a[18:19], v[60:63]// 00000000690C: D3E1003C 1CF22562
	v_mfma_f32_16x16x16_bf16 v[60:63], a[100:101], a[20:21], v[60:63]// 000000006914: D3E1003C 1CF22964
	ds_write_b64 v26, v[150:151] offset:31776                  // 00000000691C: D89A7C20 0000961A
	v_mfma_f32_16x16x16_bf16 v[60:63], a[102:103], a[22:23], v[60:63]// 000000006924: D3E1003C 1CF22D66
	v_mfma_f32_16x16x16_bf16 v[64:67], a[104:105], a[0:1], 0   // 00000000692C: D3E10040 1A020168
	ds_read_b128 v[124:127], v18 offset:13056                  // 000000006934: D9FE3300 7C000012
	ds_write_b32 v17, v36                                      // 00000000693C: D81A0000 00002411
	v_mfma_f32_16x16x16_bf16 v[64:67], a[106:107], a[2:3], v[64:67]// 000000006944: D3E10040 1D02056A
	v_mfma_f32_16x16x16_bf16 v[64:67], a[108:109], a[4:5], v[64:67]// 00000000694C: D3E10040 1D02096C
	v_mfma_f32_16x16x16_bf16 v[64:67], a[110:111], a[6:7], v[64:67]// 000000006954: D3E10040 1D020D6E
	ds_read_b128 v[128:131], v18 offset:13568                  // 00000000695C: D9FE3500 80000012
	ds_write_b32 v17, v37 offset:1056                          // 000000006964: D81A0420 00002511
	v_mfma_f32_16x16x16_bf16 v[68:71], a[104:105], a[8:9], 0   // 00000000696C: D3E10044 1A021168
	v_mfma_f32_16x16x16_bf16 v[68:71], a[106:107], a[10:11], v[68:71]// 000000006974: D3E10044 1D12156A
	v_mfma_f32_16x16x16_bf16 v[68:71], a[108:109], a[12:13], v[68:71]// 00000000697C: D3E10044 1D12196C
	ds_read_b128 v[132:135], v18 offset:15232                  // 000000006984: D9FE3B80 84000012
	ds_write_b32 v17, v38 offset:2176                          // 00000000698C: D81A0880 00002611
	v_mfma_f32_16x16x16_bf16 v[68:71], a[110:111], a[14:15], v[68:71]// 000000006994: D3E10044 1D121D6E
	v_mfma_f32_16x16x16_bf16 v[72:75], a[104:105], a[16:17], 0 // 00000000699C: D3E10048 1A022168
	v_mfma_f32_16x16x16_bf16 v[72:75], a[106:107], a[18:19], v[72:75]// 0000000069A4: D3E10048 1D22256A
	ds_read_b128 v[136:139], v18 offset:15744                  // 0000000069AC: D9FE3D80 88000012
	ds_write_b32 v17, v39 offset:3232                          // 0000000069B4: D81A0CA0 00002711
	v_mfma_f32_16x16x16_bf16 v[72:75], a[108:109], a[20:21], v[72:75]// 0000000069BC: D3E10048 1D22296C
	v_mfma_f32_16x16x16_bf16 v[72:75], a[110:111], a[22:23], v[72:75]// 0000000069C4: D3E10048 1D222D6E
	s_cmp_lt_i32 s73, 3                                        // 0000000069CC: BF048349
	s_cbranch_scc0 label_0B0C                                  // 0000000069D0: BF840017
	s_cmp_eq_i32 s73, 1                                        // 0000000069D4: BF008149
	s_cbranch_scc1 label_0AFA                                  // 0000000069D8: BF850003
	s_cmp_eq_i32 s73, 2                                        // 0000000069DC: BF008249
	s_cbranch_scc1 label_0B03                                  // 0000000069E0: BF85000A
	s_branch label_0B0C                                        // 0000000069E4: BF820012

00000000000069e8 <label_0AFA>:
	v_mov_b32_e32 v56, v230                                    // 0000000069E8: 7E7003E6
	v_mov_b32_e32 v68, v230                                    // 0000000069EC: 7E8803E6
	v_mov_b32_e32 v57, v230                                    // 0000000069F0: 7E7203E6
	v_mov_b32_e32 v69, v230                                    // 0000000069F4: 7E8A03E6
	v_mov_b32_e32 v58, v230                                    // 0000000069F8: 7E7403E6
	v_mov_b32_e32 v70, v230                                    // 0000000069FC: 7E8C03E6
	v_mov_b32_e32 v59, v230                                    // 000000006A00: 7E7603E6
	v_mov_b32_e32 v71, v230                                    // 000000006A04: 7E8E03E6
	s_branch label_0B03                                        // 000000006A08: BF820000

0000000000006a0c <label_0B03>:
	v_mov_b32_e32 v60, v230                                    // 000000006A0C: 7E7803E6
	v_mov_b32_e32 v72, v230                                    // 000000006A10: 7E9003E6
	v_mov_b32_e32 v61, v230                                    // 000000006A14: 7E7A03E6
	v_mov_b32_e32 v73, v230                                    // 000000006A18: 7E9203E6
	v_mov_b32_e32 v62, v230                                    // 000000006A1C: 7E7C03E6
	v_mov_b32_e32 v74, v230                                    // 000000006A20: 7E9403E6
	v_mov_b32_e32 v63, v230                                    // 000000006A24: 7E7E03E6
	v_mov_b32_e32 v75, v230                                    // 000000006A28: 7E9603E6
	s_branch label_0B0C                                        // 000000006A2C: BF820000

0000000000006a30 <label_0B0C>:
	s_waitcnt lgkmcnt(8)                                       // 000000006A30: BF8CC87F
	s_barrier                                                  // 000000006A34: BF8A0000
	v_mfma_f32_16x16x16_bf16 v[76:79], v[108:109], a[72:73], 0 // 000000006A38: D3E1004C 1202916C
	ds_read_b128 a[96:99], v18 offset:4352                     // 000000006A40: DBFE1100 60000012
	ds_read_b128 a[100:103], v18 offset:4864                   // 000000006A48: DBFE1300 64000012
	v_mfma_f32_16x16x16_bf16 v[76:79], v[110:111], a[74:75], v[76:79]// 000000006A50: D3E1004C 1532956E
	v_fma_f32 v52, v52, s57, -v140                             // 000000006A58: D1CB0034 86307334
	v_fma_f32 v53, v53, s57, -v141                             // 000000006A60: D1CB0035 86347335
	v_fma_f32 v54, v54, s57, -v142                             // 000000006A68: D1CB0036 86387336
	v_fma_f32 v55, v55, s57, -v143                             // 000000006A70: D1CB0037 863C7337
	v_fma_f32 v56, v56, s57, -v140                             // 000000006A78: D1CB0038 86307338
	v_fma_f32 v57, v57, s57, -v141                             // 000000006A80: D1CB0039 86347339
	v_mfma_f32_16x16x16_bf16 v[76:79], v[112:113], a[76:77], v[76:79]// 000000006A88: D3E1004C 15329970
	v_fma_f32 v58, v58, s57, -v142                             // 000000006A90: D1CB003A 8638733A
	v_fma_f32 v59, v59, s57, -v143                             // 000000006A98: D1CB003B 863C733B
	v_fma_f32 v60, v60, s57, -v140                             // 000000006AA0: D1CB003C 8630733C
	v_fma_f32 v61, v61, s57, -v141                             // 000000006AA8: D1CB003D 8634733D
	v_fma_f32 v62, v62, s57, -v142                             // 000000006AB0: D1CB003E 8638733E
	v_fma_f32 v63, v63, s57, -v143                             // 000000006AB8: D1CB003F 863C733F
	v_mfma_f32_16x16x16_bf16 v[76:79], v[114:115], a[78:79], v[76:79]// 000000006AC0: D3E1004C 15329D72
	v_fma_f32 v64, v64, s57, -v144                             // 000000006AC8: D1CB0040 86407340
	v_fma_f32 v65, v65, s57, -v145                             // 000000006AD0: D1CB0041 86447341
	v_fma_f32 v66, v66, s57, -v146                             // 000000006AD8: D1CB0042 86487342
	v_fma_f32 v67, v67, s57, -v147                             // 000000006AE0: D1CB0043 864C7343
	v_fma_f32 v68, v68, s57, -v144                             // 000000006AE8: D1CB0044 86407344
	v_fma_f32 v69, v69, s57, -v145                             // 000000006AF0: D1CB0045 86447345
	v_mfma_f32_16x16x16_bf16 v[80:83], v[108:109], a[80:81], 0 // 000000006AF8: D3E10050 1202A16C
	ds_read_b128 a[104:107], v18 offset:6528                   // 000000006B00: DBFE1980 68000012
	ds_read_b128 a[108:111], v18 offset:7040                   // 000000006B08: DBFE1B80 6C000012
	v_mfma_f32_16x16x16_bf16 v[80:83], v[110:111], a[82:83], v[80:83]// 000000006B10: D3E10050 1542A56E
	v_fma_f32 v70, v70, s57, -v146                             // 000000006B18: D1CB0046 86487346
	v_fma_f32 v71, v71, s57, -v147                             // 000000006B20: D1CB0047 864C7347
	v_fma_f32 v72, v72, s57, -v144                             // 000000006B28: D1CB0048 86407348
	v_fma_f32 v73, v73, s57, -v145                             // 000000006B30: D1CB0049 86447349
	v_fma_f32 v74, v74, s57, -v146                             // 000000006B38: D1CB004A 8648734A
	v_fma_f32 v75, v75, s57, -v147                             // 000000006B40: D1CB004B 864C734B
	v_mfma_f32_16x16x16_bf16 v[80:83], v[112:113], a[84:85], v[80:83]// 000000006B48: D3E10050 1542A970
	v_exp_f32_e32 v52, v52                                     // 000000006B50: 7E684134
	v_exp_f32_e32 v53, v53                                     // 000000006B54: 7E6A4135
	v_mfma_f32_16x16x16_bf16 v[80:83], v[114:115], a[86:87], v[80:83]// 000000006B58: D3E10050 1542AD72
	v_exp_f32_e32 v54, v54                                     // 000000006B60: 7E6C4136
	v_exp_f32_e32 v55, v55                                     // 000000006B64: 7E6E4137
	v_mfma_f32_16x16x16_bf16 v[84:87], v[108:109], a[88:89], 0 // 000000006B68: D3E10054 1202B16C
	ds_read_b32 v156, v25 offset:31232                         // 000000006B70: D86C7A00 9C000019
	ds_read_b32 v157, v25 offset:31248                         // 000000006B78: D86C7A10 9D000019
	v_mfma_f32_16x16x16_bf16 v[84:87], v[110:111], a[90:91], v[84:87]// 000000006B80: D3E10054 1552B56E
	v_exp_f32_e32 v56, v56                                     // 000000006B88: 7E704138
	v_exp_f32_e32 v57, v57                                     // 000000006B8C: 7E724139
	v_mfma_f32_16x16x16_bf16 v[84:87], v[112:113], a[92:93], v[84:87]// 000000006B90: D3E10054 1552B970
	ds_read_b32 v158, v25 offset:31264                         // 000000006B98: D86C7A20 9E000019
	ds_read_b32 v159, v25 offset:31280                         // 000000006BA0: D86C7A30 9F000019
	v_mfma_f32_16x16x16_bf16 v[84:87], v[114:115], a[94:95], v[84:87]// 000000006BA8: D3E10054 1552BD72
	v_exp_f32_e32 v58, v58                                     // 000000006BB0: 7E74413A
	v_exp_f32_e32 v59, v59                                     // 000000006BB4: 7E76413B
	v_mfma_f32_16x16x16_bf16 v[88:91], v[116:117], a[72:73], 0 // 000000006BB8: D3E10058 12029174
	v_exp_f32_e32 v60, v60                                     // 000000006BC0: 7E78413C
	v_exp_f32_e32 v61, v61                                     // 000000006BC4: 7E7A413D
	v_mfma_f32_16x16x16_bf16 v[88:91], v[118:119], a[74:75], v[88:91]// 000000006BC8: D3E10058 15629576
	v_exp_f32_e32 v62, v62                                     // 000000006BD0: 7E7C413E
	v_exp_f32_e32 v63, v63                                     // 000000006BD4: 7E7E413F
	v_mfma_f32_16x16x16_bf16 v[88:91], v[120:121], a[76:77], v[88:91]// 000000006BD8: D3E10058 15629978
	v_exp_f32_e32 v64, v64                                     // 000000006BE0: 7E804140
	v_exp_f32_e32 v65, v65                                     // 000000006BE4: 7E824141
	v_mfma_f32_16x16x16_bf16 v[88:91], v[122:123], a[78:79], v[88:91]// 000000006BE8: D3E10058 15629D7A
	v_exp_f32_e32 v66, v66                                     // 000000006BF0: 7E844142
	v_exp_f32_e32 v67, v67                                     // 000000006BF4: 7E864143
	v_mfma_f32_16x16x16_bf16 v[92:95], v[116:117], a[80:81], 0 // 000000006BF8: D3E1005C 1202A174
	v_exp_f32_e32 v68, v68                                     // 000000006C00: 7E884144
	v_exp_f32_e32 v69, v69                                     // 000000006C04: 7E8A4145
	v_mfma_f32_16x16x16_bf16 v[92:95], v[118:119], a[82:83], v[92:95]// 000000006C08: D3E1005C 1572A576
	v_exp_f32_e32 v70, v70                                     // 000000006C10: 7E8C4146
	v_exp_f32_e32 v71, v71                                     // 000000006C14: 7E8E4147
	v_mfma_f32_16x16x16_bf16 v[92:95], v[120:121], a[84:85], v[92:95]// 000000006C18: D3E1005C 1572A978
	v_exp_f32_e32 v72, v72                                     // 000000006C20: 7E904148
	v_exp_f32_e32 v73, v73                                     // 000000006C24: 7E924149
	v_mfma_f32_16x16x16_bf16 v[92:95], v[122:123], a[86:87], v[92:95]// 000000006C28: D3E1005C 1572AD7A
	v_exp_f32_e32 v74, v74                                     // 000000006C30: 7E94414A
	v_exp_f32_e32 v75, v75                                     // 000000006C34: 7E96414B
	v_mfma_f32_16x16x16_bf16 v[96:99], v[116:117], a[88:89], 0 // 000000006C38: D3E10060 1202B174
	v_cmp_u_f32_e64 s[74:75], v52, v52                         // 000000006C40: D048004A 00026934
	v_bfe_u32 v226, v52, 16, 1                                 // 000000006C48: D1C800E2 02052134
	v_add3_u32 v226, v52, v226, v229                           // 000000006C50: D1FF00E2 0797C534
	v_cndmask_b32_e64 v32, v226, v228, s[74:75]                // 000000006C58: D1000020 012BC9E2
	v_lshrrev_b32_e32 v32, 16, v32                             // 000000006C60: 20404090
	v_cmp_u_f32_e64 s[74:75], v53, v53                         // 000000006C64: D048004A 00026B35
	v_bfe_u32 v226, v53, 16, 1                                 // 000000006C6C: D1C800E2 02052135
	v_add3_u32 v226, v53, v226, v229                           // 000000006C74: D1FF00E2 0797C535
	v_cndmask_b32_e64 v33, v226, v228, s[74:75]                // 000000006C7C: D1000021 012BC9E2
	v_and_or_b32 v164, v33, v227, v32                          // 000000006C84: D20100A4 0483C721
	v_cmp_u_f32_e64 s[74:75], v54, v54                         // 000000006C8C: D048004A 00026D36
	v_bfe_u32 v226, v54, 16, 1                                 // 000000006C94: D1C800E2 02052136
	v_add3_u32 v226, v54, v226, v229                           // 000000006C9C: D1FF00E2 0797C536
	v_cndmask_b32_e64 v32, v226, v228, s[74:75]                // 000000006CA4: D1000020 012BC9E2
	v_lshrrev_b32_e32 v32, 16, v32                             // 000000006CAC: 20404090
	v_cmp_u_f32_e64 s[74:75], v55, v55                         // 000000006CB0: D048004A 00026F37
	v_bfe_u32 v226, v55, 16, 1                                 // 000000006CB8: D1C800E2 02052137
	v_add3_u32 v226, v55, v226, v229                           // 000000006CC0: D1FF00E2 0797C537
	v_cndmask_b32_e64 v33, v226, v228, s[74:75]                // 000000006CC8: D1000021 012BC9E2
	v_and_or_b32 v165, v33, v227, v32                          // 000000006CD0: D20100A5 0483C721
	v_cmp_u_f32_e64 s[74:75], v56, v56                         // 000000006CD8: D048004A 00027138
	v_bfe_u32 v226, v56, 16, 1                                 // 000000006CE0: D1C800E2 02052138
	v_add3_u32 v226, v56, v226, v229                           // 000000006CE8: D1FF00E2 0797C538
	v_cndmask_b32_e64 v32, v226, v228, s[74:75]                // 000000006CF0: D1000020 012BC9E2
	v_lshrrev_b32_e32 v32, 16, v32                             // 000000006CF8: 20404090
	v_cmp_u_f32_e64 s[74:75], v57, v57                         // 000000006CFC: D048004A 00027339
	v_bfe_u32 v226, v57, 16, 1                                 // 000000006D04: D1C800E2 02052139
	v_add3_u32 v226, v57, v226, v229                           // 000000006D0C: D1FF00E2 0797C539
	v_cndmask_b32_e64 v33, v226, v228, s[74:75]                // 000000006D14: D1000021 012BC9E2
	v_and_or_b32 v166, v33, v227, v32                          // 000000006D1C: D20100A6 0483C721
	v_cmp_u_f32_e64 s[74:75], v58, v58                         // 000000006D24: D048004A 0002753A
	v_bfe_u32 v226, v58, 16, 1                                 // 000000006D2C: D1C800E2 0205213A
	v_add3_u32 v226, v58, v226, v229                           // 000000006D34: D1FF00E2 0797C53A
	v_cndmask_b32_e64 v32, v226, v228, s[74:75]                // 000000006D3C: D1000020 012BC9E2
	v_lshrrev_b32_e32 v32, 16, v32                             // 000000006D44: 20404090
	v_cmp_u_f32_e64 s[74:75], v59, v59                         // 000000006D48: D048004A 0002773B
	v_bfe_u32 v226, v59, 16, 1                                 // 000000006D50: D1C800E2 0205213B
	v_add3_u32 v226, v59, v226, v229                           // 000000006D58: D1FF00E2 0797C53B
	v_cndmask_b32_e64 v33, v226, v228, s[74:75]                // 000000006D60: D1000021 012BC9E2
	v_and_or_b32 v167, v33, v227, v32                          // 000000006D68: D20100A7 0483C721
	v_cmp_u_f32_e64 s[74:75], v60, v60                         // 000000006D70: D048004A 0002793C
	v_bfe_u32 v226, v60, 16, 1                                 // 000000006D78: D1C800E2 0205213C
	v_add3_u32 v226, v60, v226, v229                           // 000000006D80: D1FF00E2 0797C53C
	v_cndmask_b32_e64 v32, v226, v228, s[74:75]                // 000000006D88: D1000020 012BC9E2
	v_lshrrev_b32_e32 v32, 16, v32                             // 000000006D90: 20404090
	v_cmp_u_f32_e64 s[74:75], v61, v61                         // 000000006D94: D048004A 00027B3D
	v_bfe_u32 v226, v61, 16, 1                                 // 000000006D9C: D1C800E2 0205213D
	v_add3_u32 v226, v61, v226, v229                           // 000000006DA4: D1FF00E2 0797C53D
	v_cndmask_b32_e64 v33, v226, v228, s[74:75]                // 000000006DAC: D1000021 012BC9E2
	v_and_or_b32 v168, v33, v227, v32                          // 000000006DB4: D20100A8 0483C721
	v_cmp_u_f32_e64 s[74:75], v62, v62                         // 000000006DBC: D048004A 00027D3E
	v_bfe_u32 v226, v62, 16, 1                                 // 000000006DC4: D1C800E2 0205213E
	v_add3_u32 v226, v62, v226, v229                           // 000000006DCC: D1FF00E2 0797C53E
	v_cndmask_b32_e64 v32, v226, v228, s[74:75]                // 000000006DD4: D1000020 012BC9E2
	v_lshrrev_b32_e32 v32, 16, v32                             // 000000006DDC: 20404090
	v_cmp_u_f32_e64 s[74:75], v63, v63                         // 000000006DE0: D048004A 00027F3F
	v_bfe_u32 v226, v63, 16, 1                                 // 000000006DE8: D1C800E2 0205213F
	v_add3_u32 v226, v63, v226, v229                           // 000000006DF0: D1FF00E2 0797C53F
	v_cndmask_b32_e64 v33, v226, v228, s[74:75]                // 000000006DF8: D1000021 012BC9E2
	v_and_or_b32 v169, v33, v227, v32                          // 000000006E00: D20100A9 0483C721
	v_mfma_f32_16x16x16_bf16 v[96:99], v[118:119], a[90:91], v[96:99]// 000000006E08: D3E10060 1582B576
	v_cmp_u_f32_e64 s[74:75], v64, v64                         // 000000006E10: D048004A 00028140
	v_bfe_u32 v226, v64, 16, 1                                 // 000000006E18: D1C800E2 02052140
	v_add3_u32 v226, v64, v226, v229                           // 000000006E20: D1FF00E2 0797C540
	v_cndmask_b32_e64 v32, v226, v228, s[74:75]                // 000000006E28: D1000020 012BC9E2
	v_lshrrev_b32_e32 v32, 16, v32                             // 000000006E30: 20404090
	v_cmp_u_f32_e64 s[74:75], v65, v65                         // 000000006E34: D048004A 00028341
	v_bfe_u32 v226, v65, 16, 1                                 // 000000006E3C: D1C800E2 02052141
	v_add3_u32 v226, v65, v226, v229                           // 000000006E44: D1FF00E2 0797C541
	v_cndmask_b32_e64 v33, v226, v228, s[74:75]                // 000000006E4C: D1000021 012BC9E2
	v_and_or_b32 v170, v33, v227, v32                          // 000000006E54: D20100AA 0483C721
	v_cmp_u_f32_e64 s[74:75], v66, v66                         // 000000006E5C: D048004A 00028542
	v_bfe_u32 v226, v66, 16, 1                                 // 000000006E64: D1C800E2 02052142
	v_add3_u32 v226, v66, v226, v229                           // 000000006E6C: D1FF00E2 0797C542
	v_cndmask_b32_e64 v32, v226, v228, s[74:75]                // 000000006E74: D1000020 012BC9E2
	v_lshrrev_b32_e32 v32, 16, v32                             // 000000006E7C: 20404090
	v_cmp_u_f32_e64 s[74:75], v67, v67                         // 000000006E80: D048004A 00028743
	v_bfe_u32 v226, v67, 16, 1                                 // 000000006E88: D1C800E2 02052143
	v_add3_u32 v226, v67, v226, v229                           // 000000006E90: D1FF00E2 0797C543
	v_cndmask_b32_e64 v33, v226, v228, s[74:75]                // 000000006E98: D1000021 012BC9E2
	v_and_or_b32 v171, v33, v227, v32                          // 000000006EA0: D20100AB 0483C721
	v_cmp_u_f32_e64 s[74:75], v68, v68                         // 000000006EA8: D048004A 00028944
	v_bfe_u32 v226, v68, 16, 1                                 // 000000006EB0: D1C800E2 02052144
	v_add3_u32 v226, v68, v226, v229                           // 000000006EB8: D1FF00E2 0797C544
	v_cndmask_b32_e64 v32, v226, v228, s[74:75]                // 000000006EC0: D1000020 012BC9E2
	v_lshrrev_b32_e32 v32, 16, v32                             // 000000006EC8: 20404090
	v_cmp_u_f32_e64 s[74:75], v69, v69                         // 000000006ECC: D048004A 00028B45
	v_bfe_u32 v226, v69, 16, 1                                 // 000000006ED4: D1C800E2 02052145
	v_add3_u32 v226, v69, v226, v229                           // 000000006EDC: D1FF00E2 0797C545
	v_cndmask_b32_e64 v33, v226, v228, s[74:75]                // 000000006EE4: D1000021 012BC9E2
	v_and_or_b32 v172, v33, v227, v32                          // 000000006EEC: D20100AC 0483C721
	v_cmp_u_f32_e64 s[74:75], v70, v70                         // 000000006EF4: D048004A 00028D46
	v_bfe_u32 v226, v70, 16, 1                                 // 000000006EFC: D1C800E2 02052146
	v_add3_u32 v226, v70, v226, v229                           // 000000006F04: D1FF00E2 0797C546
	v_cndmask_b32_e64 v32, v226, v228, s[74:75]                // 000000006F0C: D1000020 012BC9E2
	v_lshrrev_b32_e32 v32, 16, v32                             // 000000006F14: 20404090
	v_cmp_u_f32_e64 s[74:75], v71, v71                         // 000000006F18: D048004A 00028F47
	v_bfe_u32 v226, v71, 16, 1                                 // 000000006F20: D1C800E2 02052147
	v_add3_u32 v226, v71, v226, v229                           // 000000006F28: D1FF00E2 0797C547
	v_cndmask_b32_e64 v33, v226, v228, s[74:75]                // 000000006F30: D1000021 012BC9E2
	v_and_or_b32 v173, v33, v227, v32                          // 000000006F38: D20100AD 0483C721
	v_cmp_u_f32_e64 s[74:75], v72, v72                         // 000000006F40: D048004A 00029148
	v_bfe_u32 v226, v72, 16, 1                                 // 000000006F48: D1C800E2 02052148
	v_add3_u32 v226, v72, v226, v229                           // 000000006F50: D1FF00E2 0797C548
	v_cndmask_b32_e64 v32, v226, v228, s[74:75]                // 000000006F58: D1000020 012BC9E2
	v_lshrrev_b32_e32 v32, 16, v32                             // 000000006F60: 20404090
	v_cmp_u_f32_e64 s[74:75], v73, v73                         // 000000006F64: D048004A 00029349
	v_bfe_u32 v226, v73, 16, 1                                 // 000000006F6C: D1C800E2 02052149
	v_add3_u32 v226, v73, v226, v229                           // 000000006F74: D1FF00E2 0797C549
	v_cndmask_b32_e64 v33, v226, v228, s[74:75]                // 000000006F7C: D1000021 012BC9E2
	v_and_or_b32 v174, v33, v227, v32                          // 000000006F84: D20100AE 0483C721
	v_cmp_u_f32_e64 s[74:75], v74, v74                         // 000000006F8C: D048004A 0002954A
	v_bfe_u32 v226, v74, 16, 1                                 // 000000006F94: D1C800E2 0205214A
	v_add3_u32 v226, v74, v226, v229                           // 000000006F9C: D1FF00E2 0797C54A
	v_cndmask_b32_e64 v32, v226, v228, s[74:75]                // 000000006FA4: D1000020 012BC9E2
	v_lshrrev_b32_e32 v32, 16, v32                             // 000000006FAC: 20404090
	v_cmp_u_f32_e64 s[74:75], v75, v75                         // 000000006FB0: D048004A 0002974B
	v_bfe_u32 v226, v75, 16, 1                                 // 000000006FB8: D1C800E2 0205214B
	v_add3_u32 v226, v75, v226, v229                           // 000000006FC0: D1FF00E2 0797C54B
	v_cndmask_b32_e64 v33, v226, v228, s[74:75]                // 000000006FC8: D1000021 012BC9E2
	v_and_or_b32 v175, v33, v227, v32                          // 000000006FD0: D20100AF 0483C721
	v_mfma_f32_16x16x16_bf16 v[96:99], v[120:121], a[92:93], v[96:99]// 000000006FD8: D3E10060 1582B978
	s_add_u32 s32, s66, s32                                    // 000000006FE0: 80202042
	s_addc_u32 s33, 0, s33                                     // 000000006FE4: 82212180
	v_mfma_f32_16x16x16_bf16 v[96:99], v[122:123], a[94:95], v[96:99]// 000000006FE8: D3E10060 1582BD7A
	s_waitcnt lgkmcnt(0)                                       // 000000006FF0: BF8CC07F
	s_barrier                                                  // 000000006FF4: BF8A0000
	v_mfma_f32_16x16x16_bf16 v[178:181], v[124:125], v[164:165], v[178:181]// 000000006FF8: D3E100B2 06CB497C
	v_subrev_f32_dpp v76, v176, v76 quad_perm:[0,0,0,0] row_mask:0xf bank_mask:0xf// 000000007000: 069898FA FF0000B0
	v_subrev_f32_dpp v77, v176, v77 quad_perm:[1,1,1,1] row_mask:0xf bank_mask:0xf// 000000007008: 069A9AFA FF0055B0
	v_subrev_f32_dpp v78, v176, v78 quad_perm:[2,2,2,2] row_mask:0xf bank_mask:0xf// 000000007010: 069C9CFA FF00AAB0
	v_subrev_f32_dpp v79, v176, v79 quad_perm:[3,3,3,3] row_mask:0xf bank_mask:0xf// 000000007018: 069E9EFA FF00FFB0
	v_subrev_f32_dpp v80, v176, v80 quad_perm:[0,0,0,0] row_mask:0xf bank_mask:0xf// 000000007020: 06A0A0FA FF0000B0
	v_subrev_f32_dpp v81, v176, v81 quad_perm:[1,1,1,1] row_mask:0xf bank_mask:0xf// 000000007028: 06A2A2FA FF0055B0
	v_mfma_f32_16x16x16_bf16 v[182:185], v[126:127], v[164:165], v[182:185]// 000000007030: D3E100B6 06DB497E
	v_subrev_f32_dpp v82, v176, v82 quad_perm:[2,2,2,2] row_mask:0xf bank_mask:0xf// 000000007038: 06A4A4FA FF00AAB0
	v_subrev_f32_dpp v83, v176, v83 quad_perm:[3,3,3,3] row_mask:0xf bank_mask:0xf// 000000007040: 06A6A6FA FF00FFB0
	v_subrev_f32_dpp v84, v176, v84 quad_perm:[0,0,0,0] row_mask:0xf bank_mask:0xf// 000000007048: 06A8A8FA FF0000B0
	v_subrev_f32_dpp v85, v176, v85 quad_perm:[1,1,1,1] row_mask:0xf bank_mask:0xf// 000000007050: 06AAAAFA FF0055B0
	v_subrev_f32_dpp v86, v176, v86 quad_perm:[2,2,2,2] row_mask:0xf bank_mask:0xf// 000000007058: 06ACACFA FF00AAB0
	v_subrev_f32_dpp v87, v176, v87 quad_perm:[3,3,3,3] row_mask:0xf bank_mask:0xf// 000000007060: 06AEAEFA FF00FFB0
	v_mfma_f32_16x16x16_bf16 v[186:189], v[128:129], v[164:165], v[186:189]// 000000007068: D3E100BA 06EB4980
	v_mul_f32_e32 v76, v52, v76                                // 000000007070: 0A989934
	v_mul_f32_e32 v77, v53, v77                                // 000000007074: 0A9A9B35
	v_mul_f32_e32 v78, v54, v78                                // 000000007078: 0A9C9D36
	v_mul_f32_e32 v79, v55, v79                                // 00000000707C: 0A9E9F37
	v_mul_f32_e32 v80, v56, v80                                // 000000007080: 0AA0A138
	v_mul_f32_e32 v81, v57, v81                                // 000000007084: 0AA2A339
	v_mfma_f32_16x16x16_bf16 v[190:193], v[130:131], v[164:165], v[190:193]// 000000007088: D3E100BE 06FB4982
	v_mul_f32_e32 v82, v58, v82                                // 000000007090: 0AA4A53A
	v_mul_f32_e32 v83, v59, v83                                // 000000007094: 0AA6A73B
	v_mul_f32_e32 v84, v60, v84                                // 000000007098: 0AA8A93C
	v_mul_f32_e32 v85, v61, v85                                // 00000000709C: 0AAAAB3D
	v_mul_f32_e32 v86, v62, v86                                // 0000000070A0: 0AACAD3E
	v_mul_f32_e32 v87, v63, v87                                // 0000000070A4: 0AAEAF3F
	v_mfma_f32_16x16x16_bf16 v[194:197], v[124:125], v[166:167], v[194:197]// 0000000070A8: D3E100C2 070B4D7C
	v_cmp_u_f32_e64 s[74:75], v76, v76                         // 0000000070B0: D048004A 0002994C
	v_bfe_u32 v226, v76, 16, 1                                 // 0000000070B8: D1C800E2 0205214C
	v_add3_u32 v226, v76, v226, v229                           // 0000000070C0: D1FF00E2 0797C54C
	v_cndmask_b32_e64 v32, v226, v228, s[74:75]                // 0000000070C8: D1000020 012BC9E2
	v_lshrrev_b32_e32 v32, 16, v32                             // 0000000070D0: 20404090
	v_cmp_u_f32_e64 s[74:75], v77, v77                         // 0000000070D4: D048004A 00029B4D
	v_bfe_u32 v226, v77, 16, 1                                 // 0000000070DC: D1C800E2 0205214D
	v_add3_u32 v226, v77, v226, v229                           // 0000000070E4: D1FF00E2 0797C54D
	v_cndmask_b32_e64 v33, v226, v228, s[74:75]                // 0000000070EC: D1000021 012BC9E2
	v_and_or_b32 v76, v33, v227, v32                           // 0000000070F4: D201004C 0483C721
	v_cmp_u_f32_e64 s[74:75], v78, v78                         // 0000000070FC: D048004A 00029D4E
	v_bfe_u32 v226, v78, 16, 1                                 // 000000007104: D1C800E2 0205214E
	v_add3_u32 v226, v78, v226, v229                           // 00000000710C: D1FF00E2 0797C54E
	v_cndmask_b32_e64 v32, v226, v228, s[74:75]                // 000000007114: D1000020 012BC9E2
	v_lshrrev_b32_e32 v32, 16, v32                             // 00000000711C: 20404090
	v_cmp_u_f32_e64 s[74:75], v79, v79                         // 000000007120: D048004A 00029F4F
	v_bfe_u32 v226, v79, 16, 1                                 // 000000007128: D1C800E2 0205214F
	v_add3_u32 v226, v79, v226, v229                           // 000000007130: D1FF00E2 0797C54F
	v_cndmask_b32_e64 v33, v226, v228, s[74:75]                // 000000007138: D1000021 012BC9E2
	v_and_or_b32 v77, v33, v227, v32                           // 000000007140: D201004D 0483C721
	v_cmp_u_f32_e64 s[74:75], v80, v80                         // 000000007148: D048004A 0002A150
	v_bfe_u32 v226, v80, 16, 1                                 // 000000007150: D1C800E2 02052150
	v_add3_u32 v226, v80, v226, v229                           // 000000007158: D1FF00E2 0797C550
	v_cndmask_b32_e64 v32, v226, v228, s[74:75]                // 000000007160: D1000020 012BC9E2
	v_lshrrev_b32_e32 v32, 16, v32                             // 000000007168: 20404090
	v_cmp_u_f32_e64 s[74:75], v81, v81                         // 00000000716C: D048004A 0002A351
	v_bfe_u32 v226, v81, 16, 1                                 // 000000007174: D1C800E2 02052151
	v_add3_u32 v226, v81, v226, v229                           // 00000000717C: D1FF00E2 0797C551
	v_cndmask_b32_e64 v33, v226, v228, s[74:75]                // 000000007184: D1000021 012BC9E2
	v_and_or_b32 v78, v33, v227, v32                           // 00000000718C: D201004E 0483C721
	v_cmp_u_f32_e64 s[74:75], v82, v82                         // 000000007194: D048004A 0002A552
	v_bfe_u32 v226, v82, 16, 1                                 // 00000000719C: D1C800E2 02052152
	v_add3_u32 v226, v82, v226, v229                           // 0000000071A4: D1FF00E2 0797C552
	v_cndmask_b32_e64 v32, v226, v228, s[74:75]                // 0000000071AC: D1000020 012BC9E2
	v_lshrrev_b32_e32 v32, 16, v32                             // 0000000071B4: 20404090
	v_cmp_u_f32_e64 s[74:75], v83, v83                         // 0000000071B8: D048004A 0002A753
	v_bfe_u32 v226, v83, 16, 1                                 // 0000000071C0: D1C800E2 02052153
	v_add3_u32 v226, v83, v226, v229                           // 0000000071C8: D1FF00E2 0797C553
	v_cndmask_b32_e64 v33, v226, v228, s[74:75]                // 0000000071D0: D1000021 012BC9E2
	v_and_or_b32 v79, v33, v227, v32                           // 0000000071D8: D201004F 0483C721
	v_cmp_u_f32_e64 s[74:75], v84, v84                         // 0000000071E0: D048004A 0002A954
	v_bfe_u32 v226, v84, 16, 1                                 // 0000000071E8: D1C800E2 02052154
	v_add3_u32 v226, v84, v226, v229                           // 0000000071F0: D1FF00E2 0797C554
	v_cndmask_b32_e64 v32, v226, v228, s[74:75]                // 0000000071F8: D1000020 012BC9E2
	v_lshrrev_b32_e32 v32, 16, v32                             // 000000007200: 20404090
	v_cmp_u_f32_e64 s[74:75], v85, v85                         // 000000007204: D048004A 0002AB55
	v_bfe_u32 v226, v85, 16, 1                                 // 00000000720C: D1C800E2 02052155
	v_add3_u32 v226, v85, v226, v229                           // 000000007214: D1FF00E2 0797C555
	v_cndmask_b32_e64 v33, v226, v228, s[74:75]                // 00000000721C: D1000021 012BC9E2
	v_and_or_b32 v80, v33, v227, v32                           // 000000007224: D2010050 0483C721
	v_cmp_u_f32_e64 s[74:75], v86, v86                         // 00000000722C: D048004A 0002AD56
	v_bfe_u32 v226, v86, 16, 1                                 // 000000007234: D1C800E2 02052156
	v_add3_u32 v226, v86, v226, v229                           // 00000000723C: D1FF00E2 0797C556
	v_cndmask_b32_e64 v32, v226, v228, s[74:75]                // 000000007244: D1000020 012BC9E2
	v_lshrrev_b32_e32 v32, 16, v32                             // 00000000724C: 20404090
	v_cmp_u_f32_e64 s[74:75], v87, v87                         // 000000007250: D048004A 0002AF57
	v_bfe_u32 v226, v87, 16, 1                                 // 000000007258: D1C800E2 02052157
	v_add3_u32 v226, v87, v226, v229                           // 000000007260: D1FF00E2 0797C557
	v_cndmask_b32_e64 v33, v226, v228, s[74:75]                // 000000007268: D1000021 012BC9E2
	v_and_or_b32 v81, v33, v227, v32                           // 000000007270: D2010051 0483C721
	v_mfma_f32_16x16x16_bf16 v[198:201], v[126:127], v[166:167], v[198:201]// 000000007278: D3E100C6 071B4D7E
	v_mov_b32_dpp v22, v76 quad_perm:[1,0,3,2] row_mask:0xf bank_mask:0xf// 000000007280: 7E2C02FA FF00B14C
	v_perm_b32 v52, v22, v76, v21                              // 000000007288: D1ED0034 04569916
	v_mov_b32_dpp v22, v77 quad_perm:[1,0,3,2] row_mask:0xf bank_mask:0xf// 000000007290: 7E2C02FA FF00B14D
	v_perm_b32 v53, v22, v77, v21                              // 000000007298: D1ED0035 04569B16
	v_mov_b32_dpp v22, v78 quad_perm:[1,0,3,2] row_mask:0xf bank_mask:0xf// 0000000072A0: 7E2C02FA FF00B14E
	v_perm_b32 v54, v22, v78, v21                              // 0000000072A8: D1ED0036 04569D16
	v_mfma_f32_16x16x16_bf16 v[202:205], v[128:129], v[166:167], v[202:205]// 0000000072B0: D3E100CA 072B4D80
	v_mov_b32_dpp v22, v79 quad_perm:[1,0,3,2] row_mask:0xf bank_mask:0xf// 0000000072B8: 7E2C02FA FF00B14F
	v_perm_b32 v55, v22, v79, v21                              // 0000000072C0: D1ED0037 04569F16
	v_mov_b32_dpp v22, v80 quad_perm:[1,0,3,2] row_mask:0xf bank_mask:0xf// 0000000072C8: 7E2C02FA FF00B150
	v_perm_b32 v56, v22, v80, v21                              // 0000000072D0: D1ED0038 0456A116
	v_mov_b32_dpp v22, v81 quad_perm:[1,0,3,2] row_mask:0xf bank_mask:0xf// 0000000072D8: 7E2C02FA FF00B151
	v_perm_b32 v57, v22, v81, v21                              // 0000000072E0: D1ED0039 0456A316
	v_mfma_f32_16x16x16_bf16 v[206:209], v[130:131], v[166:167], v[206:209]// 0000000072E8: D3E100CE 073B4D82
	ds_write_b32 v24, v52 offset:17408                         // 0000000072F0: D81A4400 00003418
	ds_write_b32 v24, v53 offset:17952                         // 0000000072F8: D81A4620 00003518
	v_mfma_f32_16x16x16_bf16 v[210:213], v[124:125], v[168:169], v[210:213]// 000000007300: D3E100D2 074B517C
	v_subrev_f32_dpp v88, v177, v88 quad_perm:[0,0,0,0] row_mask:0xf bank_mask:0xf// 000000007308: 06B0B0FA FF0000B1
	v_subrev_f32_dpp v89, v177, v89 quad_perm:[1,1,1,1] row_mask:0xf bank_mask:0xf// 000000007310: 06B2B2FA FF0055B1
	v_subrev_f32_dpp v90, v177, v90 quad_perm:[2,2,2,2] row_mask:0xf bank_mask:0xf// 000000007318: 06B4B4FA FF00AAB1
	v_subrev_f32_dpp v91, v177, v91 quad_perm:[3,3,3,3] row_mask:0xf bank_mask:0xf// 000000007320: 06B6B6FA FF00FFB1
	v_subrev_f32_dpp v92, v177, v92 quad_perm:[0,0,0,0] row_mask:0xf bank_mask:0xf// 000000007328: 06B8B8FA FF0000B1
	v_subrev_f32_dpp v93, v177, v93 quad_perm:[1,1,1,1] row_mask:0xf bank_mask:0xf// 000000007330: 06BABAFA FF0055B1
	v_mfma_f32_16x16x16_bf16 v[214:217], v[126:127], v[168:169], v[214:217]// 000000007338: D3E100D6 075B517E
	ds_write_b32 v24, v54 offset:19712                         // 000000007340: D81A4D00 00003618
	ds_write_b32 v24, v55 offset:20256                         // 000000007348: D81A4F20 00003718
	v_mfma_f32_16x16x16_bf16 v[218:221], v[128:129], v[168:169], v[218:221]// 000000007350: D3E100DA 076B5180
	v_subrev_f32_dpp v94, v177, v94 quad_perm:[2,2,2,2] row_mask:0xf bank_mask:0xf// 000000007358: 06BCBCFA FF00AAB1
	v_subrev_f32_dpp v95, v177, v95 quad_perm:[3,3,3,3] row_mask:0xf bank_mask:0xf// 000000007360: 06BEBEFA FF00FFB1
	v_subrev_f32_dpp v96, v177, v96 quad_perm:[0,0,0,0] row_mask:0xf bank_mask:0xf// 000000007368: 06C0C0FA FF0000B1
	v_subrev_f32_dpp v97, v177, v97 quad_perm:[1,1,1,1] row_mask:0xf bank_mask:0xf// 000000007370: 06C2C2FA FF0055B1
	v_subrev_f32_dpp v98, v177, v98 quad_perm:[2,2,2,2] row_mask:0xf bank_mask:0xf// 000000007378: 06C4C4FA FF00AAB1
	v_subrev_f32_dpp v99, v177, v99 quad_perm:[3,3,3,3] row_mask:0xf bank_mask:0xf// 000000007380: 06C6C6FA FF00FFB1
	v_mfma_f32_16x16x16_bf16 v[222:225], v[130:131], v[168:169], v[222:225]// 000000007388: D3E100DE 077B5182
	ds_write_b32 v24, v56 offset:22016                         // 000000007390: D81A5600 00003818
	ds_write_b32 v24, v57 offset:22560                         // 000000007398: D81A5820 00003918
	v_mfma_f32_16x16x16_bf16 v[178:181], v[132:133], v[170:171], v[178:181]// 0000000073A0: D3E100B2 06CB5584
	v_mul_f32_e32 v88, v64, v88                                // 0000000073A8: 0AB0B140
	v_mul_f32_e32 v89, v65, v89                                // 0000000073AC: 0AB2B341
	v_mul_f32_e32 v90, v66, v90                                // 0000000073B0: 0AB4B542
	v_mul_f32_e32 v91, v67, v91                                // 0000000073B4: 0AB6B743
	v_mul_f32_e32 v92, v68, v92                                // 0000000073B8: 0AB8B944
	v_mul_f32_e32 v93, v69, v93                                // 0000000073BC: 0ABABB45
	v_mfma_f32_16x16x16_bf16 v[182:185], v[134:135], v[170:171], v[182:185]// 0000000073C0: D3E100B6 06DB5586
	v_mul_f32_e32 v94, v70, v94                                // 0000000073C8: 0ABCBD46
	v_mul_f32_e32 v95, v71, v95                                // 0000000073CC: 0ABEBF47
	v_mul_f32_e32 v96, v72, v96                                // 0000000073D0: 0AC0C148
	v_mul_f32_e32 v97, v73, v97                                // 0000000073D4: 0AC2C349
	v_mul_f32_e32 v98, v74, v98                                // 0000000073D8: 0AC4C54A
	v_mul_f32_e32 v99, v75, v99                                // 0000000073DC: 0AC6C74B
	v_mfma_f32_16x16x16_bf16 v[186:189], v[136:137], v[170:171], v[186:189]// 0000000073E0: D3E100BA 06EB5588
	v_cmp_u_f32_e64 s[74:75], v88, v88                         // 0000000073E8: D048004A 0002B158
	v_bfe_u32 v226, v88, 16, 1                                 // 0000000073F0: D1C800E2 02052158
	v_add3_u32 v226, v88, v226, v229                           // 0000000073F8: D1FF00E2 0797C558
	v_cndmask_b32_e64 v32, v226, v228, s[74:75]                // 000000007400: D1000020 012BC9E2
	v_lshrrev_b32_e32 v32, 16, v32                             // 000000007408: 20404090
	v_cmp_u_f32_e64 s[74:75], v89, v89                         // 00000000740C: D048004A 0002B359
	v_bfe_u32 v226, v89, 16, 1                                 // 000000007414: D1C800E2 02052159
	v_add3_u32 v226, v89, v226, v229                           // 00000000741C: D1FF00E2 0797C559
	v_cndmask_b32_e64 v33, v226, v228, s[74:75]                // 000000007424: D1000021 012BC9E2
	v_and_or_b32 v82, v33, v227, v32                           // 00000000742C: D2010052 0483C721
	v_cmp_u_f32_e64 s[74:75], v90, v90                         // 000000007434: D048004A 0002B55A
	v_bfe_u32 v226, v90, 16, 1                                 // 00000000743C: D1C800E2 0205215A
	v_add3_u32 v226, v90, v226, v229                           // 000000007444: D1FF00E2 0797C55A
	v_cndmask_b32_e64 v32, v226, v228, s[74:75]                // 00000000744C: D1000020 012BC9E2
	v_lshrrev_b32_e32 v32, 16, v32                             // 000000007454: 20404090
	v_cmp_u_f32_e64 s[74:75], v91, v91                         // 000000007458: D048004A 0002B75B
	v_bfe_u32 v226, v91, 16, 1                                 // 000000007460: D1C800E2 0205215B
	v_add3_u32 v226, v91, v226, v229                           // 000000007468: D1FF00E2 0797C55B
	v_cndmask_b32_e64 v33, v226, v228, s[74:75]                // 000000007470: D1000021 012BC9E2
	v_and_or_b32 v83, v33, v227, v32                           // 000000007478: D2010053 0483C721
	v_cmp_u_f32_e64 s[74:75], v92, v92                         // 000000007480: D048004A 0002B95C
	v_bfe_u32 v226, v92, 16, 1                                 // 000000007488: D1C800E2 0205215C
	v_add3_u32 v226, v92, v226, v229                           // 000000007490: D1FF00E2 0797C55C
	v_cndmask_b32_e64 v32, v226, v228, s[74:75]                // 000000007498: D1000020 012BC9E2
	v_lshrrev_b32_e32 v32, 16, v32                             // 0000000074A0: 20404090
	v_cmp_u_f32_e64 s[74:75], v93, v93                         // 0000000074A4: D048004A 0002BB5D
	v_bfe_u32 v226, v93, 16, 1                                 // 0000000074AC: D1C800E2 0205215D
	v_add3_u32 v226, v93, v226, v229                           // 0000000074B4: D1FF00E2 0797C55D
	v_cndmask_b32_e64 v33, v226, v228, s[74:75]                // 0000000074BC: D1000021 012BC9E2
	v_and_or_b32 v84, v33, v227, v32                           // 0000000074C4: D2010054 0483C721
	v_cmp_u_f32_e64 s[74:75], v94, v94                         // 0000000074CC: D048004A 0002BD5E
	v_bfe_u32 v226, v94, 16, 1                                 // 0000000074D4: D1C800E2 0205215E
	v_add3_u32 v226, v94, v226, v229                           // 0000000074DC: D1FF00E2 0797C55E
	v_cndmask_b32_e64 v32, v226, v228, s[74:75]                // 0000000074E4: D1000020 012BC9E2
	v_lshrrev_b32_e32 v32, 16, v32                             // 0000000074EC: 20404090
	v_cmp_u_f32_e64 s[74:75], v95, v95                         // 0000000074F0: D048004A 0002BF5F
	v_bfe_u32 v226, v95, 16, 1                                 // 0000000074F8: D1C800E2 0205215F
	v_add3_u32 v226, v95, v226, v229                           // 000000007500: D1FF00E2 0797C55F
	v_cndmask_b32_e64 v33, v226, v228, s[74:75]                // 000000007508: D1000021 012BC9E2
	v_and_or_b32 v85, v33, v227, v32                           // 000000007510: D2010055 0483C721
	v_cmp_u_f32_e64 s[74:75], v96, v96                         // 000000007518: D048004A 0002C160
	v_bfe_u32 v226, v96, 16, 1                                 // 000000007520: D1C800E2 02052160
	v_add3_u32 v226, v96, v226, v229                           // 000000007528: D1FF00E2 0797C560
	v_cndmask_b32_e64 v32, v226, v228, s[74:75]                // 000000007530: D1000020 012BC9E2
	v_lshrrev_b32_e32 v32, 16, v32                             // 000000007538: 20404090
	v_cmp_u_f32_e64 s[74:75], v97, v97                         // 00000000753C: D048004A 0002C361
	v_bfe_u32 v226, v97, 16, 1                                 // 000000007544: D1C800E2 02052161
	v_add3_u32 v226, v97, v226, v229                           // 00000000754C: D1FF00E2 0797C561
	v_cndmask_b32_e64 v33, v226, v228, s[74:75]                // 000000007554: D1000021 012BC9E2
	v_and_or_b32 v86, v33, v227, v32                           // 00000000755C: D2010056 0483C721
	v_cmp_u_f32_e64 s[74:75], v98, v98                         // 000000007564: D048004A 0002C562
	v_bfe_u32 v226, v98, 16, 1                                 // 00000000756C: D1C800E2 02052162
	v_add3_u32 v226, v98, v226, v229                           // 000000007574: D1FF00E2 0797C562
	v_cndmask_b32_e64 v32, v226, v228, s[74:75]                // 00000000757C: D1000020 012BC9E2
	v_lshrrev_b32_e32 v32, 16, v32                             // 000000007584: 20404090
	v_cmp_u_f32_e64 s[74:75], v99, v99                         // 000000007588: D048004A 0002C763
	v_bfe_u32 v226, v99, 16, 1                                 // 000000007590: D1C800E2 02052163
	v_add3_u32 v226, v99, v226, v229                           // 000000007598: D1FF00E2 0797C563
	v_cndmask_b32_e64 v33, v226, v228, s[74:75]                // 0000000075A0: D1000021 012BC9E2
	v_and_or_b32 v87, v33, v227, v32                           // 0000000075A8: D2010057 0483C721
	v_mfma_f32_16x16x16_bf16 v[190:193], v[138:139], v[170:171], v[190:193]// 0000000075B0: D3E100BE 06FB558A
	v_mov_b32_dpp v22, v82 quad_perm:[1,0,3,2] row_mask:0xf bank_mask:0xf// 0000000075B8: 7E2C02FA FF00B152
	v_perm_b32 v58, v22, v82, v21                              // 0000000075C0: D1ED003A 0456A516
	v_mov_b32_dpp v22, v83 quad_perm:[1,0,3,2] row_mask:0xf bank_mask:0xf// 0000000075C8: 7E2C02FA FF00B153
	v_perm_b32 v59, v22, v83, v21                              // 0000000075D0: D1ED003B 0456A716
	v_mov_b32_dpp v22, v84 quad_perm:[1,0,3,2] row_mask:0xf bank_mask:0xf// 0000000075D8: 7E2C02FA FF00B154
	v_perm_b32 v60, v22, v84, v21                              // 0000000075E0: D1ED003C 0456A916
	v_mfma_f32_16x16x16_bf16 v[194:197], v[132:133], v[172:173], v[194:197]// 0000000075E8: D3E100C2 070B5984
	v_mov_b32_dpp v22, v85 quad_perm:[1,0,3,2] row_mask:0xf bank_mask:0xf// 0000000075F0: 7E2C02FA FF00B155
	v_perm_b32 v61, v22, v85, v21                              // 0000000075F8: D1ED003D 0456AB16
	v_mov_b32_dpp v22, v86 quad_perm:[1,0,3,2] row_mask:0xf bank_mask:0xf// 000000007600: 7E2C02FA FF00B156
	v_perm_b32 v62, v22, v86, v21                              // 000000007608: D1ED003E 0456AD16
	v_mov_b32_dpp v22, v87 quad_perm:[1,0,3,2] row_mask:0xf bank_mask:0xf// 000000007610: 7E2C02FA FF00B157
	v_perm_b32 v63, v22, v87, v21                              // 000000007618: D1ED003F 0456AF16
	v_mfma_f32_16x16x16_bf16 v[198:201], v[134:135], v[172:173], v[198:201]// 000000007620: D3E100C6 071B5986
	ds_write_b32 v24, v58 offset:24320                         // 000000007628: D81A5F00 00003A18
	ds_write_b32 v24, v59 offset:24864                         // 000000007630: D81A6120 00003B18
	v_mfma_f32_16x16x16_bf16 v[202:205], v[136:137], v[172:173], v[202:205]// 000000007638: D3E100CA 072B5988
	v_mfma_f32_16x16x16_bf16 v[206:209], v[138:139], v[172:173], v[206:209]// 000000007640: D3E100CE 073B598A
	ds_write_b32 v24, v60 offset:26624                         // 000000007648: D81A6800 00003C18
	ds_write_b32 v24, v61 offset:27168                         // 000000007650: D81A6A20 00003D18
	ds_write_b32 v24, v62 offset:28928                         // 000000007658: D81A7100 00003E18
	ds_write_b32 v24, v63 offset:29472                         // 000000007660: D81A7320 00003F18
	v_mfma_f32_16x16x16_bf16 v[210:213], v[132:133], v[174:175], v[210:213]// 000000007668: D3E100D2 074B5D84
	v_mfma_f32_16x16x16_bf16 v[214:217], v[134:135], v[174:175], v[214:217]// 000000007670: D3E100D6 075B5D86
	ds_write_b32 v19, v100 offset:4352                         // 000000007678: D81A1100 00006413
	ds_write_b32 v19, v101 offset:5408                         // 000000007680: D81A1520 00006513
	v_mfma_f32_16x16x16_bf16 v[218:221], v[136:137], v[174:175], v[218:221]// 000000007688: D3E100DA 076B5D88
	s_nop 0                                                    // 000000007690: BF800000
	s_nop 0                                                    // 000000007694: BF800000
	;; [unrolled: 1-line block ×3, first 2 shown]
	v_mfma_f32_16x16x16_bf16 v[222:225], v[138:139], v[174:175], v[222:225]// 00000000769C: D3E100DE 077B5D8A
	ds_write_b32 v19, v102 offset:6528                         // 0000000076A4: D81A1980 00006613
	ds_write_b32 v19, v103 offset:7584                         // 0000000076AC: D81A1DA0 00006713
	s_barrier                                                  // 0000000076B4: BF8A0000
	v_mfma_f32_16x16x16_bf16 a[112:115], a[96:97], v[76:77], a[112:115]// 0000000076B8: D3E18070 0DC29960
	global_atomic_pk_add_bf16 v6, v156, s[32:33]               // 0000000076C0: DD488000 00209C06
	v_mfma_f32_16x16x16_bf16 a[116:119], a[98:99], v[76:77], a[116:119]// 0000000076C8: D3E18074 0DD29962
	ds_read_b32 v140, v27 offset:35584                         // 0000000076D0: D86C8B00 8C00001B
	ds_read_b32 v144, v27 offset:35648                         // 0000000076D8: D86C8B40 9000001B
	ds_read_b32 v176, v27 offset:35840                         // 0000000076E0: D86C8C00 B000001B
	ds_read_b32 v177, v27 offset:35904                         // 0000000076E8: D86C8C40 B100001B
	v_mfma_f32_16x16x16_bf16 a[120:123], a[100:101], v[76:77], a[120:123]// 0000000076F0: D3E18078 0DE29964
	s_waitcnt lgkmcnt(8)                                       // 0000000076F8: BF8CC87F
	s_barrier                                                  // 0000000076FC: BF8A0000
	v_mfma_f32_16x16x16_bf16 a[124:127], a[102:103], v[76:77], a[124:127]// 000000007700: D3E1807C 0DF29966
	ds_read_b128 v[52:55], v23 offset:17408                    // 000000007708: D9FE4400 34000017
	v_mfma_f32_16x16x16_bf16 a[128:131], a[96:97], v[78:79], a[128:131]// 000000007710: D3E18080 0E029D60
	v_mfma_f32_16x16x16_bf16 a[132:135], a[98:99], v[78:79], a[132:135]// 000000007718: D3E18084 0E129D62
	ds_read_b128 v[56:59], v23 offset:18560                    // 000000007720: D9FE4880 38000017
	v_mfma_f32_16x16x16_bf16 a[136:139], a[100:101], v[78:79], a[136:139]// 000000007728: D3E18088 0E229D64
	global_atomic_pk_add_bf16 v8, v157, s[32:33]               // 000000007730: DD488000 00209D08
	v_mfma_f32_16x16x16_bf16 a[140:143], a[102:103], v[78:79], a[140:143]// 000000007738: D3E1808C 0E329D66
	ds_read_b128 v[60:63], v23 offset:19712                    // 000000007740: D9FE4D00 3C000017
	v_mfma_f32_16x16x16_bf16 a[144:147], a[96:97], v[80:81], a[144:147]// 000000007748: D3E18090 0E42A160
	v_mfma_f32_16x16x16_bf16 a[148:151], a[98:99], v[80:81], a[148:151]// 000000007750: D3E18094 0E52A162
	ds_read_b128 v[64:67], v23 offset:20864                    // 000000007758: D9FE5180 40000017
	v_mfma_f32_16x16x16_bf16 a[152:155], a[100:101], v[80:81], a[152:155]// 000000007760: D3E18098 0E62A164
	v_mfma_f32_16x16x16_bf16 a[156:159], a[102:103], v[80:81], a[156:159]// 000000007768: D3E1809C 0E72A166
	ds_read_b128 v[68:71], v23 offset:22016                    // 000000007770: D9FE5600 44000017
	v_mfma_f32_16x16x16_bf16 a[112:115], a[104:105], v[82:83], a[112:115]// 000000007778: D3E18070 0DC2A568
	global_atomic_pk_add_bf16 v10, v158, s[32:33]              // 000000007780: DD488000 00209E0A
	v_mfma_f32_16x16x16_bf16 a[116:119], a[106:107], v[82:83], a[116:119]// 000000007788: D3E18074 0DD2A56A
	ds_read_b128 v[72:75], v23 offset:23168                    // 000000007790: D9FE5A80 48000017
	v_mfma_f32_16x16x16_bf16 a[120:123], a[108:109], v[82:83], a[120:123]// 000000007798: D3E18078 0DE2A56C
	v_mfma_f32_16x16x16_bf16 a[124:127], a[110:111], v[82:83], a[124:127]// 0000000077A0: D3E1807C 0DF2A56E
	ds_write_b32 v19, v104 offset:13056                        // 0000000077A8: D81A3300 00006813
	v_mfma_f32_16x16x16_bf16 a[128:131], a[104:105], v[84:85], a[128:131]// 0000000077B0: D3E18080 0E02A968
	v_mfma_f32_16x16x16_bf16 a[132:135], a[106:107], v[84:85], a[132:135]// 0000000077B8: D3E18084 0E12A96A
	ds_write_b32 v19, v105 offset:14112                        // 0000000077C0: D81A3720 00006913
	v_mfma_f32_16x16x16_bf16 a[136:139], a[108:109], v[84:85], a[136:139]// 0000000077C8: D3E18088 0E22A96C
	global_atomic_pk_add_bf16 v12, v159, s[32:33]              // 0000000077D0: DD488000 00209F0C
	v_mfma_f32_16x16x16_bf16 a[140:143], a[110:111], v[84:85], a[140:143]// 0000000077D8: D3E1808C 0E32A96E
	ds_write_b32 v19, v106 offset:15232                        // 0000000077E0: D81A3B80 00006A13
	v_mfma_f32_16x16x16_bf16 a[144:147], a[104:105], v[86:87], a[144:147]// 0000000077E8: D3E18090 0E42AD68
	v_mfma_f32_16x16x16_bf16 a[148:151], a[106:107], v[86:87], a[148:151]// 0000000077F0: D3E18094 0E52AD6A
	ds_write_b32 v19, v107 offset:16288                        // 0000000077F8: D81A3FA0 00006B13
	v_mfma_f32_16x16x16_bf16 a[152:155], a[108:109], v[86:87], a[152:155]// 000000007800: D3E18098 0E62AD6C
	v_mfma_f32_16x16x16_bf16 a[156:159], a[110:111], v[86:87], a[156:159]// 000000007808: D3E1809C 0E72AD6E
	s_waitcnt vmcnt(4) lgkmcnt(4)                              // 000000007810: BF8C0474
	s_barrier                                                  // 000000007814: BF8A0000
	v_mfma_f32_16x16x16_bf16 v[148:151], a[24:25], v[52:53], 0 // 000000007818: D3E10094 0A026918
	v_mul_f32_e32 v140, s49, v140                              // 000000007820: 0B191831
	v_mul_f32_e32 v144, s49, v144                              // 000000007824: 0B212031
	s_nop 0                                                    // 000000007828: BF800000
	v_mfma_f32_16x16x16_bf16 v[148:151], a[28:29], v[54:55], v[148:151]// 00000000782C: D3E10094 0E526D1C
	ds_read_b128 a[96:99], v16                                 // 000000007834: DBFE0000 60000010
	buffer_load_dword v36, v1, s[8:11], 0 idxen                // 00000000783C: E0502000 80022401
	v_mfma_f32_16x16x16_bf16 v[148:151], a[32:33], v[56:57], v[148:151]// 000000007844: D3E10094 0E527120
	v_mfma_f32_16x16x16_bf16 v[148:151], a[36:37], v[58:59], v[148:151]// 00000000784C: D3E10094 0E527524
	ds_read_b128 a[100:103], v16 offset:512                    // 000000007854: DBFE0200 64000010
	buffer_load_dword v37, v2, s[8:11], 0 idxen                // 00000000785C: E0502000 80022502
	v_mfma_f32_16x16x16_bf16 v[148:151], a[40:41], v[60:61], v[148:151]// 000000007864: D3E10094 0E527928
	v_perm_b32 v100, v41, v40, s63                             // 00000000786C: D1ED0064 00FE5129
	v_perm_b32 v101, v41, v40, s64                             // 000000007874: D1ED0065 01025129
	v_mfma_f32_16x16x16_bf16 v[148:151], a[44:45], v[62:63], v[148:151]// 00000000787C: D3E10094 0E527D2C
	ds_read_b128 a[104:107], v16 offset:2176                   // 000000007884: DBFE0880 68000010
	buffer_load_dword v38, v3, s[8:11], 0 idxen                // 00000000788C: E0502000 80022603
	v_mfma_f32_16x16x16_bf16 v[148:151], a[48:49], v[64:65], v[148:151]// 000000007894: D3E10094 0E528130
	v_perm_b32 v102, v43, v42, s63                             // 00000000789C: D1ED0066 00FE552B
	v_perm_b32 v103, v43, v42, s64                             // 0000000078A4: D1ED0067 0102552B
	v_mfma_f32_16x16x16_bf16 v[148:151], a[52:53], v[66:67], v[148:151]// 0000000078AC: D3E10094 0E528534
	ds_read_b128 a[108:111], v16 offset:2688                   // 0000000078B4: DBFE0A80 6C000010
	buffer_load_dword v39, v4, s[8:11], 0 idxen                // 0000000078BC: E0502000 80022704
	v_mfma_f32_16x16x16_bf16 v[148:151], a[56:57], v[68:69], v[148:151]// 0000000078C4: D3E10094 0E528938
	v_perm_b32 v104, v49, v48, s63                             // 0000000078CC: D1ED0068 00FE6131
	v_perm_b32 v105, v49, v48, s64                             // 0000000078D4: D1ED0069 01026131
	v_mfma_f32_16x16x16_bf16 v[148:151], a[60:61], v[70:71], v[148:151]// 0000000078DC: D3E10094 0E528D3C
	ds_read_b128 v[108:111], v16 offset:8704                   // 0000000078E4: D9FE2200 6C000010
	buffer_load_dword v44, v1, s[20:23], 0 idxen               // 0000000078EC: E0502000 80052C01
	v_mfma_f32_16x16x16_bf16 v[148:151], a[64:65], v[72:73], v[148:151]// 0000000078F4: D3E10094 0E529140
	v_perm_b32 v106, v51, v50, s63                             // 0000000078FC: D1ED006A 00FE6533
	v_perm_b32 v107, v51, v50, s64                             // 000000007904: D1ED006B 01026533
	v_mfma_f32_16x16x16_bf16 v[148:151], a[68:69], v[74:75], v[148:151]// 00000000790C: D3E10094 0E529544
	ds_read_b128 v[112:115], v16 offset:9216                   // 000000007914: D9FE2400 70000010
	buffer_load_dword v45, v2, s[20:23], 0 idxen               // 00000000791C: E0502000 80052D02
	v_mfma_f32_16x16x16_bf16 v[152:155], a[26:27], v[52:53], 0 // 000000007924: D3E10098 0A02691A
	v_mov_b32_dpp v143, v140 quad_perm:[3,3,3,3] row_mask:0xf bank_mask:0xf// 00000000792C: 7F1E02FA FF00FF8C
	v_mov_b32_dpp v142, v140 quad_perm:[2,2,2,2] row_mask:0xf bank_mask:0xf// 000000007934: 7F1C02FA FF00AA8C
	v_mov_b32_dpp v141, v140 quad_perm:[1,1,1,1] row_mask:0xf bank_mask:0xf// 00000000793C: 7F1A02FA FF00558C
	v_mov_b32_dpp v140, v140 quad_perm:[0,0,0,0] row_mask:0xf bank_mask:0xf// 000000007944: 7F1802FA FF00008C
	v_mfma_f32_16x16x16_bf16 v[152:155], a[30:31], v[54:55], v[152:155]// 00000000794C: D3E10098 0E626D1E
	ds_read_b128 v[116:119], v16 offset:10880                  // 000000007954: D9FE2A80 74000010
	buffer_load_dword v46, v3, s[20:23], 0 idxen               // 00000000795C: E0502000 80052E03
	v_mfma_f32_16x16x16_bf16 v[152:155], a[34:35], v[56:57], v[152:155]// 000000007964: D3E10098 0E627122
	v_mov_b32_dpp v147, v144 quad_perm:[3,3,3,3] row_mask:0xf bank_mask:0xf// 00000000796C: 7F2602FA FF00FF90
	v_mov_b32_dpp v146, v144 quad_perm:[2,2,2,2] row_mask:0xf bank_mask:0xf// 000000007974: 7F2402FA FF00AA90
	v_mov_b32_dpp v145, v144 quad_perm:[1,1,1,1] row_mask:0xf bank_mask:0xf// 00000000797C: 7F2202FA FF005590
	v_mov_b32_dpp v144, v144 quad_perm:[0,0,0,0] row_mask:0xf bank_mask:0xf// 000000007984: 7F2002FA FF000090
	s_add_u32 s60, 0x80, s59                                   // 00000000798C: 803C3BFF 00000080
	v_mfma_f32_16x16x16_bf16 v[152:155], a[38:39], v[58:59], v[152:155]// 000000007994: D3E10098 0E627526
	ds_read_b128 v[120:123], v16 offset:11392                  // 00000000799C: D9FE2C80 78000010
	buffer_load_dword v47, v4, s[20:23], 0 idxen               // 0000000079A4: E0502000 80052F04
	v_mfma_f32_16x16x16_bf16 v[152:155], a[42:43], v[60:61], v[152:155]// 0000000079AC: D3E10098 0E62792A
	s_cmp_lt_u32 s60, s58                                      // 0000000079B4: BF0A3A3C
	s_cselect_b32 s68, s68, 0                                  // 0000000079B8: 85448044
	s_cselect_b32 s69, s69, 0                                  // 0000000079BC: 85458045
	v_mfma_f32_16x16x16_bf16 v[152:155], a[46:47], v[62:63], v[152:155]// 0000000079C0: D3E10098 0E627D2E
	buffer_load_dword v15, s[24:27], 0 idxen lds               // 0000000079C8: E0512000 8006000F
	v_mfma_f32_16x16x16_bf16 v[152:155], a[50:51], v[64:65], v[152:155]// 0000000079D0: D3E10098 0E628132
	s_add_u32 s8, s68, s8                                      // 0000000079D8: 80080844
	s_addc_u32 s9, 0, s9                                       // 0000000079DC: 82090980
	v_mfma_f32_16x16x16_bf16 v[152:155], a[54:55], v[66:67], v[152:155]// 0000000079E0: D3E10098 0E628536
	s_add_u32 s20, s68, s20                                    // 0000000079E8: 80141444
	s_addc_u32 s21, 0, s21                                     // 0000000079EC: 82151580
	v_mfma_f32_16x16x16_bf16 v[152:155], a[58:59], v[68:69], v[152:155]// 0000000079F0: D3E10098 0E62893A
	s_mov_b32 m0, s77                                          // 0000000079F8: BEFC004D
	v_add_u32_e32 v15, s69, v15                                // 0000000079FC: 681E1E45
	v_mfma_f32_16x16x16_bf16 v[152:155], a[62:63], v[70:71], v[152:155]// 000000007A00: D3E10098 0E628D3E
	s_cmp_ge_u32 s59, 32                                       // 000000007A08: BF09A03B
	s_cselect_b32 s66, s67, s66                                // 000000007A0C: 85424243
	v_mfma_f32_16x16x16_bf16 v[152:155], a[66:67], v[72:73], v[152:155]// 000000007A10: D3E10098 0E629142
	s_addk_i32 s59, 0x20                                       // 000000007A18: B73B0020
	s_nop 0                                                    // 000000007A1C: BF800000
	s_cmp_lt_i32 s59, s58                                      // 000000007A20: BF043A3B
	v_mfma_f32_16x16x16_bf16 v[152:155], a[70:71], v[74:75], v[152:155]// 000000007A24: D3E10098 0E629546
	s_cbranch_scc0 label_0F0D                                  // 000000007A2C: BF840001
	s_branch label_0596                                        // 000000007A30: BF82F689

0000000000007a34 <label_0F0D>:
	s_nop 0                                                    // 000000007A34: BF800000
	s_nop 0                                                    // 000000007A38: BF800000
	s_branch label_1887                                        // 000000007A3C: BF820977

0000000000007a40 <label_0F10>:
	s_waitcnt lgkmcnt(4)                                       // 000000007A40: BF8CC47F
	s_barrier                                                  // 000000007A44: BF8A0000
	v_mfma_f32_16x16x16_bf16 v[52:55], a[96:97], a[0:1], 0     // 000000007A48: D3E10034 1A020160
	v_mul_f32_e32 v148, s48, v148                              // 000000007A50: 0B292830
	v_mul_f32_e32 v149, s48, v149                              // 000000007A54: 0B2B2A30
	v_mfma_f32_16x16x16_bf16 v[52:55], a[98:99], a[2:3], v[52:55]// 000000007A58: D3E10034 1CD20562
	ds_write_b32 v17, v48 offset:8704                          // 000000007A60: D81A2200 00003011
	ds_write_b32 v17, v49 offset:9760                          // 000000007A68: D81A2620 00003111
	v_mfma_f32_16x16x16_bf16 v[52:55], a[100:101], a[4:5], v[52:55]// 000000007A70: D3E10034 1CD20964
	v_mul_f32_e32 v150, s48, v150                              // 000000007A78: 0B2D2C30
	v_mul_f32_e32 v151, s48, v151                              // 000000007A7C: 0B2F2E30
	v_mfma_f32_16x16x16_bf16 v[52:55], a[102:103], a[6:7], v[52:55]// 000000007A80: D3E10034 1CD20D66
	ds_write_b32 v17, v50 offset:10880                         // 000000007A88: D81A2A80 00003211
	ds_write_b32 v17, v51 offset:11936                         // 000000007A90: D81A2EA0 00003311
	v_mfma_f32_16x16x16_bf16 v[56:59], a[96:97], a[8:9], 0     // 000000007A98: D3E10038 1A021160
	v_mul_f32_e32 v152, s48, v152                              // 000000007AA0: 0B313030
	v_mul_f32_e32 v153, s48, v153                              // 000000007AA4: 0B333230
	v_mfma_f32_16x16x16_bf16 v[56:59], a[98:99], a[10:11], v[56:59]// 000000007AA8: D3E10038 1CE21562
	v_mul_f32_e32 v154, s48, v154                              // 000000007AB0: 0B353430
	v_mul_f32_e32 v155, s48, v155                              // 000000007AB4: 0B373630
	v_mfma_f32_16x16x16_bf16 v[56:59], a[100:101], a[12:13], v[56:59]// 000000007AB8: D3E10038 1CE21964
	v_cmp_u_f32_e64 s[74:75], v148, v148                       // 000000007AC0: D048004A 00032994
	v_bfe_u32 v226, v148, 16, 1                                // 000000007AC8: D1C800E2 02052194
	v_add3_u32 v226, v148, v226, v229                          // 000000007AD0: D1FF00E2 0797C594
	v_cndmask_b32_e64 v32, v226, v228, s[74:75]                // 000000007AD8: D1000020 012BC9E2
	v_lshrrev_b32_e32 v32, 16, v32                             // 000000007AE0: 20404090
	v_cmp_u_f32_e64 s[74:75], v149, v149                       // 000000007AE4: D048004A 00032B95
	v_bfe_u32 v226, v149, 16, 1                                // 000000007AEC: D1C800E2 02052195
	v_add3_u32 v226, v149, v226, v229                          // 000000007AF4: D1FF00E2 0797C595
	v_cndmask_b32_e64 v33, v226, v228, s[74:75]                // 000000007AFC: D1000021 012BC9E2
	v_and_or_b32 v148, v33, v227, v32                          // 000000007B04: D2010094 0483C721
	v_cmp_u_f32_e64 s[74:75], v150, v150                       // 000000007B0C: D048004A 00032D96
	v_bfe_u32 v226, v150, 16, 1                                // 000000007B14: D1C800E2 02052196
	v_add3_u32 v226, v150, v226, v229                          // 000000007B1C: D1FF00E2 0797C596
	v_cndmask_b32_e64 v32, v226, v228, s[74:75]                // 000000007B24: D1000020 012BC9E2
	v_lshrrev_b32_e32 v32, 16, v32                             // 000000007B2C: 20404090
	v_cmp_u_f32_e64 s[74:75], v151, v151                       // 000000007B30: D048004A 00032F97
	v_bfe_u32 v226, v151, 16, 1                                // 000000007B38: D1C800E2 02052197
	v_add3_u32 v226, v151, v226, v229                          // 000000007B40: D1FF00E2 0797C597
	v_cndmask_b32_e64 v33, v226, v228, s[74:75]                // 000000007B48: D1000021 012BC9E2
	v_and_or_b32 v149, v33, v227, v32                          // 000000007B50: D2010095 0483C721
	v_mfma_f32_16x16x16_bf16 v[56:59], a[102:103], a[14:15], v[56:59]// 000000007B58: D3E10038 1CE21D66
	v_cmp_u_f32_e64 s[74:75], v152, v152                       // 000000007B60: D048004A 00033198
	v_bfe_u32 v226, v152, 16, 1                                // 000000007B68: D1C800E2 02052198
	v_add3_u32 v226, v152, v226, v229                          // 000000007B70: D1FF00E2 0797C598
	v_cndmask_b32_e64 v32, v226, v228, s[74:75]                // 000000007B78: D1000020 012BC9E2
	v_lshrrev_b32_e32 v32, 16, v32                             // 000000007B80: 20404090
	v_cmp_u_f32_e64 s[74:75], v153, v153                       // 000000007B84: D048004A 00033399
	v_bfe_u32 v226, v153, 16, 1                                // 000000007B8C: D1C800E2 02052199
	v_add3_u32 v226, v153, v226, v229                          // 000000007B94: D1FF00E2 0797C599
	v_cndmask_b32_e64 v33, v226, v228, s[74:75]                // 000000007B9C: D1000021 012BC9E2
	v_and_or_b32 v150, v33, v227, v32                          // 000000007BA4: D2010096 0483C721
	v_cmp_u_f32_e64 s[74:75], v154, v154                       // 000000007BAC: D048004A 0003359A
	v_bfe_u32 v226, v154, 16, 1                                // 000000007BB4: D1C800E2 0205219A
	v_add3_u32 v226, v154, v226, v229                          // 000000007BBC: D1FF00E2 0797C59A
	v_cndmask_b32_e64 v32, v226, v228, s[74:75]                // 000000007BC4: D1000020 012BC9E2
	v_lshrrev_b32_e32 v32, 16, v32                             // 000000007BCC: 20404090
	v_cmp_u_f32_e64 s[74:75], v155, v155                       // 000000007BD0: D048004A 0003379B
	v_bfe_u32 v226, v155, 16, 1                                // 000000007BD8: D1C800E2 0205219B
	v_add3_u32 v226, v155, v226, v229                          // 000000007BE0: D1FF00E2 0797C59B
	v_cndmask_b32_e64 v33, v226, v228, s[74:75]                // 000000007BE8: D1000021 012BC9E2
	v_and_or_b32 v151, v33, v227, v32                          // 000000007BF0: D2010097 0483C721
	v_mfma_f32_16x16x16_bf16 v[60:63], a[96:97], a[16:17], 0   // 000000007BF8: D3E1003C 1A022160
	v_mfma_f32_16x16x16_bf16 v[60:63], a[98:99], a[18:19], v[60:63]// 000000007C00: D3E1003C 1CF22562
	ds_write_b64 v26, v[148:149] offset:31232                  // 000000007C08: D89A7A00 0000941A
	v_mfma_f32_16x16x16_bf16 v[60:63], a[100:101], a[20:21], v[60:63]// 000000007C10: D3E1003C 1CF22964
	v_mfma_f32_16x16x16_bf16 v[60:63], a[102:103], a[22:23], v[60:63]// 000000007C18: D3E1003C 1CF22D66
	ds_write_b64 v26, v[150:151] offset:31776                  // 000000007C20: D89A7C20 0000961A
	v_mfma_f32_16x16x16_bf16 v[64:67], a[104:105], a[0:1], 0   // 000000007C28: D3E10040 1A020168
	v_mfma_f32_16x16x16_bf16 v[64:67], a[106:107], a[2:3], v[64:67]// 000000007C30: D3E10040 1D02056A
	ds_read_b128 v[124:127], v18 offset:13056                  // 000000007C38: D9FE3300 7C000012
	ds_write_b32 v17, v40                                      // 000000007C40: D81A0000 00002811
	v_mfma_f32_16x16x16_bf16 v[64:67], a[108:109], a[4:5], v[64:67]// 000000007C48: D3E10040 1D02096C
	v_mfma_f32_16x16x16_bf16 v[64:67], a[110:111], a[6:7], v[64:67]// 000000007C50: D3E10040 1D020D6E
	v_mfma_f32_16x16x16_bf16 v[68:71], a[104:105], a[8:9], 0   // 000000007C58: D3E10044 1A021168
	ds_read_b128 v[128:131], v18 offset:13568                  // 000000007C60: D9FE3500 80000012
	ds_write_b32 v17, v41 offset:1056                          // 000000007C68: D81A0420 00002911
	v_mfma_f32_16x16x16_bf16 v[68:71], a[106:107], a[10:11], v[68:71]// 000000007C70: D3E10044 1D12156A
	v_mfma_f32_16x16x16_bf16 v[68:71], a[108:109], a[12:13], v[68:71]// 000000007C78: D3E10044 1D12196C
	v_mfma_f32_16x16x16_bf16 v[68:71], a[110:111], a[14:15], v[68:71]// 000000007C80: D3E10044 1D121D6E
	ds_read_b128 v[132:135], v18 offset:15232                  // 000000007C88: D9FE3B80 84000012
	ds_write_b32 v17, v42 offset:2176                          // 000000007C90: D81A0880 00002A11
	v_mfma_f32_16x16x16_bf16 v[72:75], a[104:105], a[16:17], 0 // 000000007C98: D3E10048 1A022168
	v_mfma_f32_16x16x16_bf16 v[72:75], a[106:107], a[18:19], v[72:75]// 000000007CA0: D3E10048 1D22256A
	v_mfma_f32_16x16x16_bf16 v[72:75], a[108:109], a[20:21], v[72:75]// 000000007CA8: D3E10048 1D22296C
	ds_read_b128 v[136:139], v18 offset:15744                  // 000000007CB0: D9FE3D80 88000012
	ds_write_b32 v17, v43 offset:3232                          // 000000007CB8: D81A0CA0 00002B11
	v_mfma_f32_16x16x16_bf16 v[72:75], a[110:111], a[22:23], v[72:75]// 000000007CC0: D3E10048 1D222D6E
	s_cmp_lt_i32 s73, 3                                        // 000000007CC8: BF048349
	s_cbranch_scc0 label_0FCB                                  // 000000007CCC: BF840017
	s_cmp_eq_i32 s73, 1                                        // 000000007CD0: BF008149
	s_cbranch_scc1 label_0FB9                                  // 000000007CD4: BF850003
	s_cmp_eq_i32 s73, 2                                        // 000000007CD8: BF008249
	s_cbranch_scc1 label_0FC2                                  // 000000007CDC: BF85000A
	s_branch label_0FCB                                        // 000000007CE0: BF820012

0000000000007ce4 <label_0FB9>:
	v_mov_b32_e32 v56, v230                                    // 000000007CE4: 7E7003E6
	v_mov_b32_e32 v68, v230                                    // 000000007CE8: 7E8803E6
	v_mov_b32_e32 v57, v230                                    // 000000007CEC: 7E7203E6
	v_mov_b32_e32 v69, v230                                    // 000000007CF0: 7E8A03E6
	v_mov_b32_e32 v58, v230                                    // 000000007CF4: 7E7403E6
	v_mov_b32_e32 v70, v230                                    // 000000007CF8: 7E8C03E6
	v_mov_b32_e32 v59, v230                                    // 000000007CFC: 7E7603E6
	v_mov_b32_e32 v71, v230                                    // 000000007D00: 7E8E03E6
	s_branch label_0FC2                                        // 000000007D04: BF820000

0000000000007d08 <label_0FC2>:
	v_mov_b32_e32 v60, v230                                    // 000000007D08: 7E7803E6
	v_mov_b32_e32 v72, v230                                    // 000000007D0C: 7E9003E6
	v_mov_b32_e32 v61, v230                                    // 000000007D10: 7E7A03E6
	v_mov_b32_e32 v73, v230                                    // 000000007D14: 7E9203E6
	v_mov_b32_e32 v62, v230                                    // 000000007D18: 7E7C03E6
	v_mov_b32_e32 v74, v230                                    // 000000007D1C: 7E9403E6
	v_mov_b32_e32 v63, v230                                    // 000000007D20: 7E7E03E6
	v_mov_b32_e32 v75, v230                                    // 000000007D24: 7E9603E6
	s_branch label_0FCB                                        // 000000007D28: BF820000

0000000000007d2c <label_0FCB>:
	s_waitcnt lgkmcnt(8)                                       // 000000007D2C: BF8CC87F
	s_barrier                                                  // 000000007D30: BF8A0000
	v_mfma_f32_16x16x16_bf16 v[76:79], v[108:109], a[72:73], 0 // 000000007D34: D3E1004C 1202916C
	v_fma_f32 v52, v52, s57, -v140                             // 000000007D3C: D1CB0034 86307334
	v_fma_f32 v53, v53, s57, -v141                             // 000000007D44: D1CB0035 86347335
	v_fma_f32 v54, v54, s57, -v142                             // 000000007D4C: D1CB0036 86387336
	v_fma_f32 v55, v55, s57, -v143                             // 000000007D54: D1CB0037 863C7337
	v_fma_f32 v56, v56, s57, -v140                             // 000000007D5C: D1CB0038 86307338
	v_fma_f32 v57, v57, s57, -v141                             // 000000007D64: D1CB0039 86347339
	v_mfma_f32_16x16x16_bf16 v[76:79], v[110:111], a[74:75], v[76:79]// 000000007D6C: D3E1004C 1532956E
	ds_read_b128 a[96:99], v18 offset:4352                     // 000000007D74: DBFE1100 60000012
	ds_read_b128 a[100:103], v18 offset:4864                   // 000000007D7C: DBFE1300 64000012
	v_mfma_f32_16x16x16_bf16 v[76:79], v[112:113], a[76:77], v[76:79]// 000000007D84: D3E1004C 15329970
	v_fma_f32 v58, v58, s57, -v142                             // 000000007D8C: D1CB003A 8638733A
	v_fma_f32 v59, v59, s57, -v143                             // 000000007D94: D1CB003B 863C733B
	v_fma_f32 v60, v60, s57, -v140                             // 000000007D9C: D1CB003C 8630733C
	v_fma_f32 v61, v61, s57, -v141                             // 000000007DA4: D1CB003D 8634733D
	v_fma_f32 v62, v62, s57, -v142                             // 000000007DAC: D1CB003E 8638733E
	v_fma_f32 v63, v63, s57, -v143                             // 000000007DB4: D1CB003F 863C733F
	v_mfma_f32_16x16x16_bf16 v[76:79], v[114:115], a[78:79], v[76:79]// 000000007DBC: D3E1004C 15329D72
	v_fma_f32 v64, v64, s57, -v144                             // 000000007DC4: D1CB0040 86407340
	v_fma_f32 v65, v65, s57, -v145                             // 000000007DCC: D1CB0041 86447341
	v_fma_f32 v66, v66, s57, -v146                             // 000000007DD4: D1CB0042 86487342
	v_fma_f32 v67, v67, s57, -v147                             // 000000007DDC: D1CB0043 864C7343
	v_fma_f32 v68, v68, s57, -v144                             // 000000007DE4: D1CB0044 86407344
	v_fma_f32 v69, v69, s57, -v145                             // 000000007DEC: D1CB0045 86447345
	v_mfma_f32_16x16x16_bf16 v[80:83], v[108:109], a[80:81], 0 // 000000007DF4: D3E10050 1202A16C
	v_fma_f32 v70, v70, s57, -v146                             // 000000007DFC: D1CB0046 86487346
	v_fma_f32 v71, v71, s57, -v147                             // 000000007E04: D1CB0047 864C7347
	v_fma_f32 v72, v72, s57, -v144                             // 000000007E0C: D1CB0048 86407348
	v_fma_f32 v73, v73, s57, -v145                             // 000000007E14: D1CB0049 86447349
	v_fma_f32 v74, v74, s57, -v146                             // 000000007E1C: D1CB004A 8648734A
	v_fma_f32 v75, v75, s57, -v147                             // 000000007E24: D1CB004B 864C734B
	v_mfma_f32_16x16x16_bf16 v[80:83], v[110:111], a[82:83], v[80:83]// 000000007E2C: D3E10050 1542A56E
	ds_read_b128 a[104:107], v18 offset:6528                   // 000000007E34: DBFE1980 68000012
	ds_read_b128 a[108:111], v18 offset:7040                   // 000000007E3C: DBFE1B80 6C000012
	v_mfma_f32_16x16x16_bf16 v[80:83], v[112:113], a[84:85], v[80:83]// 000000007E44: D3E10050 1542A970
	v_exp_f32_e32 v52, v52                                     // 000000007E4C: 7E684134
	v_exp_f32_e32 v53, v53                                     // 000000007E50: 7E6A4135
	v_mfma_f32_16x16x16_bf16 v[80:83], v[114:115], a[86:87], v[80:83]// 000000007E54: D3E10050 1542AD72
	v_exp_f32_e32 v54, v54                                     // 000000007E5C: 7E6C4136
	v_exp_f32_e32 v55, v55                                     // 000000007E60: 7E6E4137
	v_mfma_f32_16x16x16_bf16 v[84:87], v[108:109], a[88:89], 0 // 000000007E64: D3E10054 1202B16C
	v_exp_f32_e32 v56, v56                                     // 000000007E6C: 7E704138
	v_exp_f32_e32 v57, v57                                     // 000000007E70: 7E724139
	v_mfma_f32_16x16x16_bf16 v[84:87], v[110:111], a[90:91], v[84:87]// 000000007E74: D3E10054 1552B56E
	ds_read_b32 v156, v25 offset:31232                         // 000000007E7C: D86C7A00 9C000019
	ds_read_b32 v157, v25 offset:31248                         // 000000007E84: D86C7A10 9D000019
	v_mfma_f32_16x16x16_bf16 v[84:87], v[112:113], a[92:93], v[84:87]// 000000007E8C: D3E10054 1552B970
	v_exp_f32_e32 v58, v58                                     // 000000007E94: 7E74413A
	v_exp_f32_e32 v59, v59                                     // 000000007E98: 7E76413B
	v_mfma_f32_16x16x16_bf16 v[84:87], v[114:115], a[94:95], v[84:87]// 000000007E9C: D3E10054 1552BD72
	ds_read_b32 v158, v25 offset:31264                         // 000000007EA4: D86C7A20 9E000019
	ds_read_b32 v159, v25 offset:31280                         // 000000007EAC: D86C7A30 9F000019
	v_mfma_f32_16x16x16_bf16 v[88:91], v[116:117], a[72:73], 0 // 000000007EB4: D3E10058 12029174
	v_exp_f32_e32 v60, v60                                     // 000000007EBC: 7E78413C
	v_exp_f32_e32 v61, v61                                     // 000000007EC0: 7E7A413D
	v_mfma_f32_16x16x16_bf16 v[88:91], v[118:119], a[74:75], v[88:91]// 000000007EC4: D3E10058 15629576
	v_exp_f32_e32 v62, v62                                     // 000000007ECC: 7E7C413E
	v_exp_f32_e32 v63, v63                                     // 000000007ED0: 7E7E413F
	v_mfma_f32_16x16x16_bf16 v[88:91], v[120:121], a[76:77], v[88:91]// 000000007ED4: D3E10058 15629978
	v_exp_f32_e32 v64, v64                                     // 000000007EDC: 7E804140
	v_exp_f32_e32 v65, v65                                     // 000000007EE0: 7E824141
	v_mfma_f32_16x16x16_bf16 v[88:91], v[122:123], a[78:79], v[88:91]// 000000007EE4: D3E10058 15629D7A
	v_exp_f32_e32 v66, v66                                     // 000000007EEC: 7E844142
	v_exp_f32_e32 v67, v67                                     // 000000007EF0: 7E864143
	v_mfma_f32_16x16x16_bf16 v[92:95], v[116:117], a[80:81], 0 // 000000007EF4: D3E1005C 1202A174
	v_exp_f32_e32 v68, v68                                     // 000000007EFC: 7E884144
	v_exp_f32_e32 v69, v69                                     // 000000007F00: 7E8A4145
	v_mfma_f32_16x16x16_bf16 v[92:95], v[118:119], a[82:83], v[92:95]// 000000007F04: D3E1005C 1572A576
	v_exp_f32_e32 v70, v70                                     // 000000007F0C: 7E8C4146
	v_exp_f32_e32 v71, v71                                     // 000000007F10: 7E8E4147
	v_mfma_f32_16x16x16_bf16 v[92:95], v[120:121], a[84:85], v[92:95]// 000000007F14: D3E1005C 1572A978
	v_exp_f32_e32 v72, v72                                     // 000000007F1C: 7E904148
	v_exp_f32_e32 v73, v73                                     // 000000007F20: 7E924149
	v_mfma_f32_16x16x16_bf16 v[92:95], v[122:123], a[86:87], v[92:95]// 000000007F24: D3E1005C 1572AD7A
	v_exp_f32_e32 v74, v74                                     // 000000007F2C: 7E94414A
	v_exp_f32_e32 v75, v75                                     // 000000007F30: 7E96414B
	v_mfma_f32_16x16x16_bf16 v[96:99], v[116:117], a[88:89], 0 // 000000007F34: D3E10060 1202B174
	v_cmp_u_f32_e64 s[74:75], v52, v52                         // 000000007F3C: D048004A 00026934
	v_bfe_u32 v226, v52, 16, 1                                 // 000000007F44: D1C800E2 02052134
	v_add3_u32 v226, v52, v226, v229                           // 000000007F4C: D1FF00E2 0797C534
	v_cndmask_b32_e64 v32, v226, v228, s[74:75]                // 000000007F54: D1000020 012BC9E2
	v_lshrrev_b32_e32 v32, 16, v32                             // 000000007F5C: 20404090
	v_cmp_u_f32_e64 s[74:75], v53, v53                         // 000000007F60: D048004A 00026B35
	v_bfe_u32 v226, v53, 16, 1                                 // 000000007F68: D1C800E2 02052135
	v_add3_u32 v226, v53, v226, v229                           // 000000007F70: D1FF00E2 0797C535
	v_cndmask_b32_e64 v33, v226, v228, s[74:75]                // 000000007F78: D1000021 012BC9E2
	v_and_or_b32 v164, v33, v227, v32                          // 000000007F80: D20100A4 0483C721
	v_cmp_u_f32_e64 s[74:75], v54, v54                         // 000000007F88: D048004A 00026D36
	v_bfe_u32 v226, v54, 16, 1                                 // 000000007F90: D1C800E2 02052136
	v_add3_u32 v226, v54, v226, v229                           // 000000007F98: D1FF00E2 0797C536
	v_cndmask_b32_e64 v32, v226, v228, s[74:75]                // 000000007FA0: D1000020 012BC9E2
	v_lshrrev_b32_e32 v32, 16, v32                             // 000000007FA8: 20404090
	v_cmp_u_f32_e64 s[74:75], v55, v55                         // 000000007FAC: D048004A 00026F37
	v_bfe_u32 v226, v55, 16, 1                                 // 000000007FB4: D1C800E2 02052137
	v_add3_u32 v226, v55, v226, v229                           // 000000007FBC: D1FF00E2 0797C537
	v_cndmask_b32_e64 v33, v226, v228, s[74:75]                // 000000007FC4: D1000021 012BC9E2
	v_and_or_b32 v165, v33, v227, v32                          // 000000007FCC: D20100A5 0483C721
	v_cmp_u_f32_e64 s[74:75], v56, v56                         // 000000007FD4: D048004A 00027138
	v_bfe_u32 v226, v56, 16, 1                                 // 000000007FDC: D1C800E2 02052138
	v_add3_u32 v226, v56, v226, v229                           // 000000007FE4: D1FF00E2 0797C538
	v_cndmask_b32_e64 v32, v226, v228, s[74:75]                // 000000007FEC: D1000020 012BC9E2
	v_lshrrev_b32_e32 v32, 16, v32                             // 000000007FF4: 20404090
	v_cmp_u_f32_e64 s[74:75], v57, v57                         // 000000007FF8: D048004A 00027339
	v_bfe_u32 v226, v57, 16, 1                                 // 000000008000: D1C800E2 02052139
	v_add3_u32 v226, v57, v226, v229                           // 000000008008: D1FF00E2 0797C539
	v_cndmask_b32_e64 v33, v226, v228, s[74:75]                // 000000008010: D1000021 012BC9E2
	v_and_or_b32 v166, v33, v227, v32                          // 000000008018: D20100A6 0483C721
	v_cmp_u_f32_e64 s[74:75], v58, v58                         // 000000008020: D048004A 0002753A
	v_bfe_u32 v226, v58, 16, 1                                 // 000000008028: D1C800E2 0205213A
	v_add3_u32 v226, v58, v226, v229                           // 000000008030: D1FF00E2 0797C53A
	v_cndmask_b32_e64 v32, v226, v228, s[74:75]                // 000000008038: D1000020 012BC9E2
	v_lshrrev_b32_e32 v32, 16, v32                             // 000000008040: 20404090
	v_cmp_u_f32_e64 s[74:75], v59, v59                         // 000000008044: D048004A 0002773B
	v_bfe_u32 v226, v59, 16, 1                                 // 00000000804C: D1C800E2 0205213B
	v_add3_u32 v226, v59, v226, v229                           // 000000008054: D1FF00E2 0797C53B
	v_cndmask_b32_e64 v33, v226, v228, s[74:75]                // 00000000805C: D1000021 012BC9E2
	v_and_or_b32 v167, v33, v227, v32                          // 000000008064: D20100A7 0483C721
	v_cmp_u_f32_e64 s[74:75], v60, v60                         // 00000000806C: D048004A 0002793C
	v_bfe_u32 v226, v60, 16, 1                                 // 000000008074: D1C800E2 0205213C
	v_add3_u32 v226, v60, v226, v229                           // 00000000807C: D1FF00E2 0797C53C
	v_cndmask_b32_e64 v32, v226, v228, s[74:75]                // 000000008084: D1000020 012BC9E2
	v_lshrrev_b32_e32 v32, 16, v32                             // 00000000808C: 20404090
	v_cmp_u_f32_e64 s[74:75], v61, v61                         // 000000008090: D048004A 00027B3D
	v_bfe_u32 v226, v61, 16, 1                                 // 000000008098: D1C800E2 0205213D
	v_add3_u32 v226, v61, v226, v229                           // 0000000080A0: D1FF00E2 0797C53D
	v_cndmask_b32_e64 v33, v226, v228, s[74:75]                // 0000000080A8: D1000021 012BC9E2
	v_and_or_b32 v168, v33, v227, v32                          // 0000000080B0: D20100A8 0483C721
	v_cmp_u_f32_e64 s[74:75], v62, v62                         // 0000000080B8: D048004A 00027D3E
	v_bfe_u32 v226, v62, 16, 1                                 // 0000000080C0: D1C800E2 0205213E
	v_add3_u32 v226, v62, v226, v229                           // 0000000080C8: D1FF00E2 0797C53E
	v_cndmask_b32_e64 v32, v226, v228, s[74:75]                // 0000000080D0: D1000020 012BC9E2
	v_lshrrev_b32_e32 v32, 16, v32                             // 0000000080D8: 20404090
	v_cmp_u_f32_e64 s[74:75], v63, v63                         // 0000000080DC: D048004A 00027F3F
	v_bfe_u32 v226, v63, 16, 1                                 // 0000000080E4: D1C800E2 0205213F
	v_add3_u32 v226, v63, v226, v229                           // 0000000080EC: D1FF00E2 0797C53F
	v_cndmask_b32_e64 v33, v226, v228, s[74:75]                // 0000000080F4: D1000021 012BC9E2
	v_and_or_b32 v169, v33, v227, v32                          // 0000000080FC: D20100A9 0483C721
	v_mfma_f32_16x16x16_bf16 v[96:99], v[118:119], a[90:91], v[96:99]// 000000008104: D3E10060 1582B576
	v_cmp_u_f32_e64 s[74:75], v64, v64                         // 00000000810C: D048004A 00028140
	v_bfe_u32 v226, v64, 16, 1                                 // 000000008114: D1C800E2 02052140
	v_add3_u32 v226, v64, v226, v229                           // 00000000811C: D1FF00E2 0797C540
	v_cndmask_b32_e64 v32, v226, v228, s[74:75]                // 000000008124: D1000020 012BC9E2
	v_lshrrev_b32_e32 v32, 16, v32                             // 00000000812C: 20404090
	v_cmp_u_f32_e64 s[74:75], v65, v65                         // 000000008130: D048004A 00028341
	v_bfe_u32 v226, v65, 16, 1                                 // 000000008138: D1C800E2 02052141
	v_add3_u32 v226, v65, v226, v229                           // 000000008140: D1FF00E2 0797C541
	v_cndmask_b32_e64 v33, v226, v228, s[74:75]                // 000000008148: D1000021 012BC9E2
	v_and_or_b32 v170, v33, v227, v32                          // 000000008150: D20100AA 0483C721
	v_cmp_u_f32_e64 s[74:75], v66, v66                         // 000000008158: D048004A 00028542
	v_bfe_u32 v226, v66, 16, 1                                 // 000000008160: D1C800E2 02052142
	v_add3_u32 v226, v66, v226, v229                           // 000000008168: D1FF00E2 0797C542
	v_cndmask_b32_e64 v32, v226, v228, s[74:75]                // 000000008170: D1000020 012BC9E2
	v_lshrrev_b32_e32 v32, 16, v32                             // 000000008178: 20404090
	v_cmp_u_f32_e64 s[74:75], v67, v67                         // 00000000817C: D048004A 00028743
	v_bfe_u32 v226, v67, 16, 1                                 // 000000008184: D1C800E2 02052143
	v_add3_u32 v226, v67, v226, v229                           // 00000000818C: D1FF00E2 0797C543
	v_cndmask_b32_e64 v33, v226, v228, s[74:75]                // 000000008194: D1000021 012BC9E2
	v_and_or_b32 v171, v33, v227, v32                          // 00000000819C: D20100AB 0483C721
	v_cmp_u_f32_e64 s[74:75], v68, v68                         // 0000000081A4: D048004A 00028944
	v_bfe_u32 v226, v68, 16, 1                                 // 0000000081AC: D1C800E2 02052144
	v_add3_u32 v226, v68, v226, v229                           // 0000000081B4: D1FF00E2 0797C544
	v_cndmask_b32_e64 v32, v226, v228, s[74:75]                // 0000000081BC: D1000020 012BC9E2
	v_lshrrev_b32_e32 v32, 16, v32                             // 0000000081C4: 20404090
	v_cmp_u_f32_e64 s[74:75], v69, v69                         // 0000000081C8: D048004A 00028B45
	v_bfe_u32 v226, v69, 16, 1                                 // 0000000081D0: D1C800E2 02052145
	v_add3_u32 v226, v69, v226, v229                           // 0000000081D8: D1FF00E2 0797C545
	v_cndmask_b32_e64 v33, v226, v228, s[74:75]                // 0000000081E0: D1000021 012BC9E2
	v_and_or_b32 v172, v33, v227, v32                          // 0000000081E8: D20100AC 0483C721
	v_cmp_u_f32_e64 s[74:75], v70, v70                         // 0000000081F0: D048004A 00028D46
	v_bfe_u32 v226, v70, 16, 1                                 // 0000000081F8: D1C800E2 02052146
	v_add3_u32 v226, v70, v226, v229                           // 000000008200: D1FF00E2 0797C546
	v_cndmask_b32_e64 v32, v226, v228, s[74:75]                // 000000008208: D1000020 012BC9E2
	v_lshrrev_b32_e32 v32, 16, v32                             // 000000008210: 20404090
	v_cmp_u_f32_e64 s[74:75], v71, v71                         // 000000008214: D048004A 00028F47
	v_bfe_u32 v226, v71, 16, 1                                 // 00000000821C: D1C800E2 02052147
	v_add3_u32 v226, v71, v226, v229                           // 000000008224: D1FF00E2 0797C547
	v_cndmask_b32_e64 v33, v226, v228, s[74:75]                // 00000000822C: D1000021 012BC9E2
	v_and_or_b32 v173, v33, v227, v32                          // 000000008234: D20100AD 0483C721
	v_cmp_u_f32_e64 s[74:75], v72, v72                         // 00000000823C: D048004A 00029148
	v_bfe_u32 v226, v72, 16, 1                                 // 000000008244: D1C800E2 02052148
	v_add3_u32 v226, v72, v226, v229                           // 00000000824C: D1FF00E2 0797C548
	v_cndmask_b32_e64 v32, v226, v228, s[74:75]                // 000000008254: D1000020 012BC9E2
	v_lshrrev_b32_e32 v32, 16, v32                             // 00000000825C: 20404090
	v_cmp_u_f32_e64 s[74:75], v73, v73                         // 000000008260: D048004A 00029349
	v_bfe_u32 v226, v73, 16, 1                                 // 000000008268: D1C800E2 02052149
	v_add3_u32 v226, v73, v226, v229                           // 000000008270: D1FF00E2 0797C549
	v_cndmask_b32_e64 v33, v226, v228, s[74:75]                // 000000008278: D1000021 012BC9E2
	v_and_or_b32 v174, v33, v227, v32                          // 000000008280: D20100AE 0483C721
	v_cmp_u_f32_e64 s[74:75], v74, v74                         // 000000008288: D048004A 0002954A
	v_bfe_u32 v226, v74, 16, 1                                 // 000000008290: D1C800E2 0205214A
	v_add3_u32 v226, v74, v226, v229                           // 000000008298: D1FF00E2 0797C54A
	v_cndmask_b32_e64 v32, v226, v228, s[74:75]                // 0000000082A0: D1000020 012BC9E2
	v_lshrrev_b32_e32 v32, 16, v32                             // 0000000082A8: 20404090
	v_cmp_u_f32_e64 s[74:75], v75, v75                         // 0000000082AC: D048004A 0002974B
	v_bfe_u32 v226, v75, 16, 1                                 // 0000000082B4: D1C800E2 0205214B
	v_add3_u32 v226, v75, v226, v229                           // 0000000082BC: D1FF00E2 0797C54B
	v_cndmask_b32_e64 v33, v226, v228, s[74:75]                // 0000000082C4: D1000021 012BC9E2
	v_and_or_b32 v175, v33, v227, v32                          // 0000000082CC: D20100AF 0483C721
	v_mfma_f32_16x16x16_bf16 v[96:99], v[120:121], a[92:93], v[96:99]// 0000000082D4: D3E10060 1582B978
	s_add_u32 s32, s66, s32                                    // 0000000082DC: 80202042
	s_addc_u32 s33, 0, s33                                     // 0000000082E0: 82212180
	v_mfma_f32_16x16x16_bf16 v[96:99], v[122:123], a[94:95], v[96:99]// 0000000082E4: D3E10060 1582BD7A
	s_waitcnt lgkmcnt(0)                                       // 0000000082EC: BF8CC07F
	s_barrier                                                  // 0000000082F0: BF8A0000
	v_mfma_f32_16x16x16_bf16 v[178:181], v[124:125], v[164:165], v[178:181]// 0000000082F4: D3E100B2 06CB497C
	v_subrev_f32_dpp v76, v176, v76 quad_perm:[0,0,0,0] row_mask:0xf bank_mask:0xf// 0000000082FC: 069898FA FF0000B0
	v_subrev_f32_dpp v77, v176, v77 quad_perm:[1,1,1,1] row_mask:0xf bank_mask:0xf// 000000008304: 069A9AFA FF0055B0
	v_subrev_f32_dpp v78, v176, v78 quad_perm:[2,2,2,2] row_mask:0xf bank_mask:0xf// 00000000830C: 069C9CFA FF00AAB0
	v_subrev_f32_dpp v79, v176, v79 quad_perm:[3,3,3,3] row_mask:0xf bank_mask:0xf// 000000008314: 069E9EFA FF00FFB0
	v_subrev_f32_dpp v80, v176, v80 quad_perm:[0,0,0,0] row_mask:0xf bank_mask:0xf// 00000000831C: 06A0A0FA FF0000B0
	v_subrev_f32_dpp v81, v176, v81 quad_perm:[1,1,1,1] row_mask:0xf bank_mask:0xf// 000000008324: 06A2A2FA FF0055B0
	v_mfma_f32_16x16x16_bf16 v[182:185], v[126:127], v[164:165], v[182:185]// 00000000832C: D3E100B6 06DB497E
	v_subrev_f32_dpp v82, v176, v82 quad_perm:[2,2,2,2] row_mask:0xf bank_mask:0xf// 000000008334: 06A4A4FA FF00AAB0
	v_subrev_f32_dpp v83, v176, v83 quad_perm:[3,3,3,3] row_mask:0xf bank_mask:0xf// 00000000833C: 06A6A6FA FF00FFB0
	v_subrev_f32_dpp v84, v176, v84 quad_perm:[0,0,0,0] row_mask:0xf bank_mask:0xf// 000000008344: 06A8A8FA FF0000B0
	v_subrev_f32_dpp v85, v176, v85 quad_perm:[1,1,1,1] row_mask:0xf bank_mask:0xf// 00000000834C: 06AAAAFA FF0055B0
	v_subrev_f32_dpp v86, v176, v86 quad_perm:[2,2,2,2] row_mask:0xf bank_mask:0xf// 000000008354: 06ACACFA FF00AAB0
	v_subrev_f32_dpp v87, v176, v87 quad_perm:[3,3,3,3] row_mask:0xf bank_mask:0xf// 00000000835C: 06AEAEFA FF00FFB0
	v_mfma_f32_16x16x16_bf16 v[186:189], v[128:129], v[164:165], v[186:189]// 000000008364: D3E100BA 06EB4980
	v_mul_f32_e32 v76, v52, v76                                // 00000000836C: 0A989934
	v_mul_f32_e32 v77, v53, v77                                // 000000008370: 0A9A9B35
	v_mul_f32_e32 v78, v54, v78                                // 000000008374: 0A9C9D36
	v_mul_f32_e32 v79, v55, v79                                // 000000008378: 0A9E9F37
	v_mul_f32_e32 v80, v56, v80                                // 00000000837C: 0AA0A138
	v_mul_f32_e32 v81, v57, v81                                // 000000008380: 0AA2A339
	v_mfma_f32_16x16x16_bf16 v[190:193], v[130:131], v[164:165], v[190:193]// 000000008384: D3E100BE 06FB4982
	v_mul_f32_e32 v82, v58, v82                                // 00000000838C: 0AA4A53A
	v_mul_f32_e32 v83, v59, v83                                // 000000008390: 0AA6A73B
	v_mul_f32_e32 v84, v60, v84                                // 000000008394: 0AA8A93C
	v_mul_f32_e32 v85, v61, v85                                // 000000008398: 0AAAAB3D
	v_mul_f32_e32 v86, v62, v86                                // 00000000839C: 0AACAD3E
	v_mul_f32_e32 v87, v63, v87                                // 0000000083A0: 0AAEAF3F
	v_mfma_f32_16x16x16_bf16 v[194:197], v[124:125], v[166:167], v[194:197]// 0000000083A4: D3E100C2 070B4D7C
	v_cmp_u_f32_e64 s[74:75], v76, v76                         // 0000000083AC: D048004A 0002994C
	v_bfe_u32 v226, v76, 16, 1                                 // 0000000083B4: D1C800E2 0205214C
	v_add3_u32 v226, v76, v226, v229                           // 0000000083BC: D1FF00E2 0797C54C
	v_cndmask_b32_e64 v32, v226, v228, s[74:75]                // 0000000083C4: D1000020 012BC9E2
	v_lshrrev_b32_e32 v32, 16, v32                             // 0000000083CC: 20404090
	v_cmp_u_f32_e64 s[74:75], v77, v77                         // 0000000083D0: D048004A 00029B4D
	v_bfe_u32 v226, v77, 16, 1                                 // 0000000083D8: D1C800E2 0205214D
	v_add3_u32 v226, v77, v226, v229                           // 0000000083E0: D1FF00E2 0797C54D
	v_cndmask_b32_e64 v33, v226, v228, s[74:75]                // 0000000083E8: D1000021 012BC9E2
	v_and_or_b32 v76, v33, v227, v32                           // 0000000083F0: D201004C 0483C721
	v_cmp_u_f32_e64 s[74:75], v78, v78                         // 0000000083F8: D048004A 00029D4E
	v_bfe_u32 v226, v78, 16, 1                                 // 000000008400: D1C800E2 0205214E
	v_add3_u32 v226, v78, v226, v229                           // 000000008408: D1FF00E2 0797C54E
	v_cndmask_b32_e64 v32, v226, v228, s[74:75]                // 000000008410: D1000020 012BC9E2
	v_lshrrev_b32_e32 v32, 16, v32                             // 000000008418: 20404090
	v_cmp_u_f32_e64 s[74:75], v79, v79                         // 00000000841C: D048004A 00029F4F
	v_bfe_u32 v226, v79, 16, 1                                 // 000000008424: D1C800E2 0205214F
	v_add3_u32 v226, v79, v226, v229                           // 00000000842C: D1FF00E2 0797C54F
	v_cndmask_b32_e64 v33, v226, v228, s[74:75]                // 000000008434: D1000021 012BC9E2
	v_and_or_b32 v77, v33, v227, v32                           // 00000000843C: D201004D 0483C721
	v_cmp_u_f32_e64 s[74:75], v80, v80                         // 000000008444: D048004A 0002A150
	v_bfe_u32 v226, v80, 16, 1                                 // 00000000844C: D1C800E2 02052150
	v_add3_u32 v226, v80, v226, v229                           // 000000008454: D1FF00E2 0797C550
	v_cndmask_b32_e64 v32, v226, v228, s[74:75]                // 00000000845C: D1000020 012BC9E2
	v_lshrrev_b32_e32 v32, 16, v32                             // 000000008464: 20404090
	v_cmp_u_f32_e64 s[74:75], v81, v81                         // 000000008468: D048004A 0002A351
	v_bfe_u32 v226, v81, 16, 1                                 // 000000008470: D1C800E2 02052151
	v_add3_u32 v226, v81, v226, v229                           // 000000008478: D1FF00E2 0797C551
	v_cndmask_b32_e64 v33, v226, v228, s[74:75]                // 000000008480: D1000021 012BC9E2
	v_and_or_b32 v78, v33, v227, v32                           // 000000008488: D201004E 0483C721
	v_cmp_u_f32_e64 s[74:75], v82, v82                         // 000000008490: D048004A 0002A552
	v_bfe_u32 v226, v82, 16, 1                                 // 000000008498: D1C800E2 02052152
	v_add3_u32 v226, v82, v226, v229                           // 0000000084A0: D1FF00E2 0797C552
	v_cndmask_b32_e64 v32, v226, v228, s[74:75]                // 0000000084A8: D1000020 012BC9E2
	v_lshrrev_b32_e32 v32, 16, v32                             // 0000000084B0: 20404090
	v_cmp_u_f32_e64 s[74:75], v83, v83                         // 0000000084B4: D048004A 0002A753
	v_bfe_u32 v226, v83, 16, 1                                 // 0000000084BC: D1C800E2 02052153
	v_add3_u32 v226, v83, v226, v229                           // 0000000084C4: D1FF00E2 0797C553
	v_cndmask_b32_e64 v33, v226, v228, s[74:75]                // 0000000084CC: D1000021 012BC9E2
	v_and_or_b32 v79, v33, v227, v32                           // 0000000084D4: D201004F 0483C721
	v_cmp_u_f32_e64 s[74:75], v84, v84                         // 0000000084DC: D048004A 0002A954
	v_bfe_u32 v226, v84, 16, 1                                 // 0000000084E4: D1C800E2 02052154
	v_add3_u32 v226, v84, v226, v229                           // 0000000084EC: D1FF00E2 0797C554
	v_cndmask_b32_e64 v32, v226, v228, s[74:75]                // 0000000084F4: D1000020 012BC9E2
	v_lshrrev_b32_e32 v32, 16, v32                             // 0000000084FC: 20404090
	v_cmp_u_f32_e64 s[74:75], v85, v85                         // 000000008500: D048004A 0002AB55
	v_bfe_u32 v226, v85, 16, 1                                 // 000000008508: D1C800E2 02052155
	v_add3_u32 v226, v85, v226, v229                           // 000000008510: D1FF00E2 0797C555
	v_cndmask_b32_e64 v33, v226, v228, s[74:75]                // 000000008518: D1000021 012BC9E2
	v_and_or_b32 v80, v33, v227, v32                           // 000000008520: D2010050 0483C721
	v_cmp_u_f32_e64 s[74:75], v86, v86                         // 000000008528: D048004A 0002AD56
	v_bfe_u32 v226, v86, 16, 1                                 // 000000008530: D1C800E2 02052156
	v_add3_u32 v226, v86, v226, v229                           // 000000008538: D1FF00E2 0797C556
	v_cndmask_b32_e64 v32, v226, v228, s[74:75]                // 000000008540: D1000020 012BC9E2
	v_lshrrev_b32_e32 v32, 16, v32                             // 000000008548: 20404090
	v_cmp_u_f32_e64 s[74:75], v87, v87                         // 00000000854C: D048004A 0002AF57
	v_bfe_u32 v226, v87, 16, 1                                 // 000000008554: D1C800E2 02052157
	v_add3_u32 v226, v87, v226, v229                           // 00000000855C: D1FF00E2 0797C557
	v_cndmask_b32_e64 v33, v226, v228, s[74:75]                // 000000008564: D1000021 012BC9E2
	v_and_or_b32 v81, v33, v227, v32                           // 00000000856C: D2010051 0483C721
	v_mfma_f32_16x16x16_bf16 v[198:201], v[126:127], v[166:167], v[198:201]// 000000008574: D3E100C6 071B4D7E
	v_mov_b32_dpp v22, v76 quad_perm:[1,0,3,2] row_mask:0xf bank_mask:0xf// 00000000857C: 7E2C02FA FF00B14C
	v_perm_b32 v52, v22, v76, v21                              // 000000008584: D1ED0034 04569916
	v_mov_b32_dpp v22, v77 quad_perm:[1,0,3,2] row_mask:0xf bank_mask:0xf// 00000000858C: 7E2C02FA FF00B14D
	v_perm_b32 v53, v22, v77, v21                              // 000000008594: D1ED0035 04569B16
	v_mov_b32_dpp v22, v78 quad_perm:[1,0,3,2] row_mask:0xf bank_mask:0xf// 00000000859C: 7E2C02FA FF00B14E
	v_perm_b32 v54, v22, v78, v21                              // 0000000085A4: D1ED0036 04569D16
	v_mfma_f32_16x16x16_bf16 v[202:205], v[128:129], v[166:167], v[202:205]// 0000000085AC: D3E100CA 072B4D80
	ds_write_b32 v24, v52 offset:17408                         // 0000000085B4: D81A4400 00003418
	ds_write_b32 v24, v53 offset:17952                         // 0000000085BC: D81A4620 00003518
	v_mfma_f32_16x16x16_bf16 v[206:209], v[130:131], v[166:167], v[206:209]// 0000000085C4: D3E100CE 073B4D82
	v_mov_b32_dpp v22, v79 quad_perm:[1,0,3,2] row_mask:0xf bank_mask:0xf// 0000000085CC: 7E2C02FA FF00B14F
	v_perm_b32 v55, v22, v79, v21                              // 0000000085D4: D1ED0037 04569F16
	v_mov_b32_dpp v22, v80 quad_perm:[1,0,3,2] row_mask:0xf bank_mask:0xf// 0000000085DC: 7E2C02FA FF00B150
	v_perm_b32 v56, v22, v80, v21                              // 0000000085E4: D1ED0038 0456A116
	v_mov_b32_dpp v22, v81 quad_perm:[1,0,3,2] row_mask:0xf bank_mask:0xf// 0000000085EC: 7E2C02FA FF00B151
	v_perm_b32 v57, v22, v81, v21                              // 0000000085F4: D1ED0039 0456A316
	v_mfma_f32_16x16x16_bf16 v[210:213], v[124:125], v[168:169], v[210:213]// 0000000085FC: D3E100D2 074B517C
	ds_write_b32 v24, v54 offset:19712                         // 000000008604: D81A4D00 00003618
	ds_write_b32 v24, v55 offset:20256                         // 00000000860C: D81A4F20 00003718
	v_mfma_f32_16x16x16_bf16 v[214:217], v[126:127], v[168:169], v[214:217]// 000000008614: D3E100D6 075B517E
	v_subrev_f32_dpp v88, v177, v88 quad_perm:[0,0,0,0] row_mask:0xf bank_mask:0xf// 00000000861C: 06B0B0FA FF0000B1
	v_subrev_f32_dpp v89, v177, v89 quad_perm:[1,1,1,1] row_mask:0xf bank_mask:0xf// 000000008624: 06B2B2FA FF0055B1
	v_subrev_f32_dpp v90, v177, v90 quad_perm:[2,2,2,2] row_mask:0xf bank_mask:0xf// 00000000862C: 06B4B4FA FF00AAB1
	v_subrev_f32_dpp v91, v177, v91 quad_perm:[3,3,3,3] row_mask:0xf bank_mask:0xf// 000000008634: 06B6B6FA FF00FFB1
	v_subrev_f32_dpp v92, v177, v92 quad_perm:[0,0,0,0] row_mask:0xf bank_mask:0xf// 00000000863C: 06B8B8FA FF0000B1
	v_subrev_f32_dpp v93, v177, v93 quad_perm:[1,1,1,1] row_mask:0xf bank_mask:0xf// 000000008644: 06BABAFA FF0055B1
	v_mfma_f32_16x16x16_bf16 v[218:221], v[128:129], v[168:169], v[218:221]// 00000000864C: D3E100DA 076B5180
	ds_write_b32 v24, v56 offset:22016                         // 000000008654: D81A5600 00003818
	ds_write_b32 v24, v57 offset:22560                         // 00000000865C: D81A5820 00003918
	v_mfma_f32_16x16x16_bf16 v[222:225], v[130:131], v[168:169], v[222:225]// 000000008664: D3E100DE 077B5182
	v_subrev_f32_dpp v94, v177, v94 quad_perm:[2,2,2,2] row_mask:0xf bank_mask:0xf// 00000000866C: 06BCBCFA FF00AAB1
	v_subrev_f32_dpp v95, v177, v95 quad_perm:[3,3,3,3] row_mask:0xf bank_mask:0xf// 000000008674: 06BEBEFA FF00FFB1
	v_subrev_f32_dpp v96, v177, v96 quad_perm:[0,0,0,0] row_mask:0xf bank_mask:0xf// 00000000867C: 06C0C0FA FF0000B1
	v_subrev_f32_dpp v97, v177, v97 quad_perm:[1,1,1,1] row_mask:0xf bank_mask:0xf// 000000008684: 06C2C2FA FF0055B1
	v_subrev_f32_dpp v98, v177, v98 quad_perm:[2,2,2,2] row_mask:0xf bank_mask:0xf// 00000000868C: 06C4C4FA FF00AAB1
	v_subrev_f32_dpp v99, v177, v99 quad_perm:[3,3,3,3] row_mask:0xf bank_mask:0xf// 000000008694: 06C6C6FA FF00FFB1
	v_mfma_f32_16x16x16_bf16 v[178:181], v[132:133], v[170:171], v[178:181]// 00000000869C: D3E100B2 06CB5584
	v_mul_f32_e32 v88, v64, v88                                // 0000000086A4: 0AB0B140
	v_mul_f32_e32 v89, v65, v89                                // 0000000086A8: 0AB2B341
	v_mul_f32_e32 v90, v66, v90                                // 0000000086AC: 0AB4B542
	v_mul_f32_e32 v91, v67, v91                                // 0000000086B0: 0AB6B743
	v_mul_f32_e32 v92, v68, v92                                // 0000000086B4: 0AB8B944
	v_mul_f32_e32 v93, v69, v93                                // 0000000086B8: 0ABABB45
	v_mfma_f32_16x16x16_bf16 v[182:185], v[134:135], v[170:171], v[182:185]// 0000000086BC: D3E100B6 06DB5586
	v_mul_f32_e32 v94, v70, v94                                // 0000000086C4: 0ABCBD46
	v_mul_f32_e32 v95, v71, v95                                // 0000000086C8: 0ABEBF47
	v_mul_f32_e32 v96, v72, v96                                // 0000000086CC: 0AC0C148
	v_mul_f32_e32 v97, v73, v97                                // 0000000086D0: 0AC2C349
	v_mul_f32_e32 v98, v74, v98                                // 0000000086D4: 0AC4C54A
	v_mul_f32_e32 v99, v75, v99                                // 0000000086D8: 0AC6C74B
	v_mfma_f32_16x16x16_bf16 v[186:189], v[136:137], v[170:171], v[186:189]// 0000000086DC: D3E100BA 06EB5588
	v_cmp_u_f32_e64 s[74:75], v88, v88                         // 0000000086E4: D048004A 0002B158
	v_bfe_u32 v226, v88, 16, 1                                 // 0000000086EC: D1C800E2 02052158
	v_add3_u32 v226, v88, v226, v229                           // 0000000086F4: D1FF00E2 0797C558
	v_cndmask_b32_e64 v32, v226, v228, s[74:75]                // 0000000086FC: D1000020 012BC9E2
	v_lshrrev_b32_e32 v32, 16, v32                             // 000000008704: 20404090
	v_cmp_u_f32_e64 s[74:75], v89, v89                         // 000000008708: D048004A 0002B359
	v_bfe_u32 v226, v89, 16, 1                                 // 000000008710: D1C800E2 02052159
	v_add3_u32 v226, v89, v226, v229                           // 000000008718: D1FF00E2 0797C559
	v_cndmask_b32_e64 v33, v226, v228, s[74:75]                // 000000008720: D1000021 012BC9E2
	v_and_or_b32 v82, v33, v227, v32                           // 000000008728: D2010052 0483C721
	v_cmp_u_f32_e64 s[74:75], v90, v90                         // 000000008730: D048004A 0002B55A
	v_bfe_u32 v226, v90, 16, 1                                 // 000000008738: D1C800E2 0205215A
	v_add3_u32 v226, v90, v226, v229                           // 000000008740: D1FF00E2 0797C55A
	v_cndmask_b32_e64 v32, v226, v228, s[74:75]                // 000000008748: D1000020 012BC9E2
	v_lshrrev_b32_e32 v32, 16, v32                             // 000000008750: 20404090
	v_cmp_u_f32_e64 s[74:75], v91, v91                         // 000000008754: D048004A 0002B75B
	v_bfe_u32 v226, v91, 16, 1                                 // 00000000875C: D1C800E2 0205215B
	v_add3_u32 v226, v91, v226, v229                           // 000000008764: D1FF00E2 0797C55B
	v_cndmask_b32_e64 v33, v226, v228, s[74:75]                // 00000000876C: D1000021 012BC9E2
	v_and_or_b32 v83, v33, v227, v32                           // 000000008774: D2010053 0483C721
	v_cmp_u_f32_e64 s[74:75], v92, v92                         // 00000000877C: D048004A 0002B95C
	v_bfe_u32 v226, v92, 16, 1                                 // 000000008784: D1C800E2 0205215C
	v_add3_u32 v226, v92, v226, v229                           // 00000000878C: D1FF00E2 0797C55C
	v_cndmask_b32_e64 v32, v226, v228, s[74:75]                // 000000008794: D1000020 012BC9E2
	v_lshrrev_b32_e32 v32, 16, v32                             // 00000000879C: 20404090
	v_cmp_u_f32_e64 s[74:75], v93, v93                         // 0000000087A0: D048004A 0002BB5D
	v_bfe_u32 v226, v93, 16, 1                                 // 0000000087A8: D1C800E2 0205215D
	v_add3_u32 v226, v93, v226, v229                           // 0000000087B0: D1FF00E2 0797C55D
	v_cndmask_b32_e64 v33, v226, v228, s[74:75]                // 0000000087B8: D1000021 012BC9E2
	v_and_or_b32 v84, v33, v227, v32                           // 0000000087C0: D2010054 0483C721
	v_cmp_u_f32_e64 s[74:75], v94, v94                         // 0000000087C8: D048004A 0002BD5E
	v_bfe_u32 v226, v94, 16, 1                                 // 0000000087D0: D1C800E2 0205215E
	v_add3_u32 v226, v94, v226, v229                           // 0000000087D8: D1FF00E2 0797C55E
	v_cndmask_b32_e64 v32, v226, v228, s[74:75]                // 0000000087E0: D1000020 012BC9E2
	v_lshrrev_b32_e32 v32, 16, v32                             // 0000000087E8: 20404090
	v_cmp_u_f32_e64 s[74:75], v95, v95                         // 0000000087EC: D048004A 0002BF5F
	v_bfe_u32 v226, v95, 16, 1                                 // 0000000087F4: D1C800E2 0205215F
	v_add3_u32 v226, v95, v226, v229                           // 0000000087FC: D1FF00E2 0797C55F
	v_cndmask_b32_e64 v33, v226, v228, s[74:75]                // 000000008804: D1000021 012BC9E2
	v_and_or_b32 v85, v33, v227, v32                           // 00000000880C: D2010055 0483C721
	v_cmp_u_f32_e64 s[74:75], v96, v96                         // 000000008814: D048004A 0002C160
	v_bfe_u32 v226, v96, 16, 1                                 // 00000000881C: D1C800E2 02052160
	v_add3_u32 v226, v96, v226, v229                           // 000000008824: D1FF00E2 0797C560
	v_cndmask_b32_e64 v32, v226, v228, s[74:75]                // 00000000882C: D1000020 012BC9E2
	v_lshrrev_b32_e32 v32, 16, v32                             // 000000008834: 20404090
	v_cmp_u_f32_e64 s[74:75], v97, v97                         // 000000008838: D048004A 0002C361
	v_bfe_u32 v226, v97, 16, 1                                 // 000000008840: D1C800E2 02052161
	v_add3_u32 v226, v97, v226, v229                           // 000000008848: D1FF00E2 0797C561
	v_cndmask_b32_e64 v33, v226, v228, s[74:75]                // 000000008850: D1000021 012BC9E2
	v_and_or_b32 v86, v33, v227, v32                           // 000000008858: D2010056 0483C721
	v_cmp_u_f32_e64 s[74:75], v98, v98                         // 000000008860: D048004A 0002C562
	v_bfe_u32 v226, v98, 16, 1                                 // 000000008868: D1C800E2 02052162
	v_add3_u32 v226, v98, v226, v229                           // 000000008870: D1FF00E2 0797C562
	v_cndmask_b32_e64 v32, v226, v228, s[74:75]                // 000000008878: D1000020 012BC9E2
	v_lshrrev_b32_e32 v32, 16, v32                             // 000000008880: 20404090
	v_cmp_u_f32_e64 s[74:75], v99, v99                         // 000000008884: D048004A 0002C763
	v_bfe_u32 v226, v99, 16, 1                                 // 00000000888C: D1C800E2 02052163
	v_add3_u32 v226, v99, v226, v229                           // 000000008894: D1FF00E2 0797C563
	v_cndmask_b32_e64 v33, v226, v228, s[74:75]                // 00000000889C: D1000021 012BC9E2
	v_and_or_b32 v87, v33, v227, v32                           // 0000000088A4: D2010057 0483C721
	v_mfma_f32_16x16x16_bf16 v[190:193], v[138:139], v[170:171], v[190:193]// 0000000088AC: D3E100BE 06FB558A
	v_mov_b32_dpp v22, v82 quad_perm:[1,0,3,2] row_mask:0xf bank_mask:0xf// 0000000088B4: 7E2C02FA FF00B152
	v_perm_b32 v58, v22, v82, v21                              // 0000000088BC: D1ED003A 0456A516
	v_mov_b32_dpp v22, v83 quad_perm:[1,0,3,2] row_mask:0xf bank_mask:0xf// 0000000088C4: 7E2C02FA FF00B153
	v_perm_b32 v59, v22, v83, v21                              // 0000000088CC: D1ED003B 0456A716
	v_mov_b32_dpp v22, v84 quad_perm:[1,0,3,2] row_mask:0xf bank_mask:0xf// 0000000088D4: 7E2C02FA FF00B154
	v_perm_b32 v60, v22, v84, v21                              // 0000000088DC: D1ED003C 0456A916
	v_mfma_f32_16x16x16_bf16 v[194:197], v[132:133], v[172:173], v[194:197]// 0000000088E4: D3E100C2 070B5984
	ds_write_b32 v24, v58 offset:24320                         // 0000000088EC: D81A5F00 00003A18
	ds_write_b32 v24, v59 offset:24864                         // 0000000088F4: D81A6120 00003B18
	v_mfma_f32_16x16x16_bf16 v[198:201], v[134:135], v[172:173], v[198:201]// 0000000088FC: D3E100C6 071B5986
	v_mov_b32_dpp v22, v85 quad_perm:[1,0,3,2] row_mask:0xf bank_mask:0xf// 000000008904: 7E2C02FA FF00B155
	v_perm_b32 v61, v22, v85, v21                              // 00000000890C: D1ED003D 0456AB16
	v_mov_b32_dpp v22, v86 quad_perm:[1,0,3,2] row_mask:0xf bank_mask:0xf// 000000008914: 7E2C02FA FF00B156
	v_perm_b32 v62, v22, v86, v21                              // 00000000891C: D1ED003E 0456AD16
	v_mov_b32_dpp v22, v87 quad_perm:[1,0,3,2] row_mask:0xf bank_mask:0xf// 000000008924: 7E2C02FA FF00B157
	v_perm_b32 v63, v22, v87, v21                              // 00000000892C: D1ED003F 0456AF16
	v_mfma_f32_16x16x16_bf16 v[202:205], v[136:137], v[172:173], v[202:205]// 000000008934: D3E100CA 072B5988
	ds_write_b32 v24, v60 offset:26624                         // 00000000893C: D81A6800 00003C18
	ds_write_b32 v24, v61 offset:27168                         // 000000008944: D81A6A20 00003D18
	ds_write_b32 v24, v62 offset:28928                         // 00000000894C: D81A7100 00003E18
	ds_write_b32 v24, v63 offset:29472                         // 000000008954: D81A7320 00003F18
	v_mfma_f32_16x16x16_bf16 v[206:209], v[138:139], v[172:173], v[206:209]// 00000000895C: D3E100CE 073B598A
	v_mfma_f32_16x16x16_bf16 v[210:213], v[132:133], v[174:175], v[210:213]// 000000008964: D3E100D2 074B5D84
	ds_write_b32 v19, v100 offset:4352                         // 00000000896C: D81A1100 00006413
	ds_write_b32 v19, v101 offset:5408                         // 000000008974: D81A1520 00006513
	v_mfma_f32_16x16x16_bf16 v[214:217], v[134:135], v[174:175], v[214:217]// 00000000897C: D3E100D6 075B5D86
	v_mfma_f32_16x16x16_bf16 v[218:221], v[136:137], v[174:175], v[218:221]// 000000008984: D3E100DA 076B5D88
	ds_write_b32 v19, v102 offset:6528                         // 00000000898C: D81A1980 00006613
	ds_write_b32 v19, v103 offset:7584                         // 000000008994: D81A1DA0 00006713
	v_mfma_f32_16x16x16_bf16 v[222:225], v[138:139], v[174:175], v[222:225]// 00000000899C: D3E100DE 077B5D8A
	s_nop 0                                                    // 0000000089A4: BF800000
	s_nop 0                                                    // 0000000089A8: BF800000
	s_nop 0                                                    // 0000000089AC: BF800000
	s_barrier                                                  // 0000000089B0: BF8A0000
	v_mfma_f32_16x16x16_bf16 a[112:115], a[96:97], v[76:77], a[112:115]// 0000000089B4: D3E18070 0DC29960
	ds_read_b32 v140, v27 offset:36096                         // 0000000089BC: D86C8D00 8C00001B
	ds_read_b32 v144, v27 offset:36160                         // 0000000089C4: D86C8D40 9000001B
	ds_read_b32 v176, v27 offset:36352                         // 0000000089CC: D86C8E00 B000001B
	ds_read_b32 v177, v27 offset:36416                         // 0000000089D4: D86C8E40 B100001B
	v_mfma_f32_16x16x16_bf16 a[116:119], a[98:99], v[76:77], a[116:119]// 0000000089DC: D3E18074 0DD29962
	global_atomic_pk_add_bf16 v6, v156, s[32:33]               // 0000000089E4: DD488000 00209C06
	v_mfma_f32_16x16x16_bf16 a[120:123], a[100:101], v[76:77], a[120:123]// 0000000089EC: D3E18078 0DE29964
	s_waitcnt lgkmcnt(8)                                       // 0000000089F4: BF8CC87F
	s_barrier                                                  // 0000000089F8: BF8A0000
	v_mfma_f32_16x16x16_bf16 a[124:127], a[102:103], v[76:77], a[124:127]// 0000000089FC: D3E1807C 0DF29966
	v_mfma_f32_16x16x16_bf16 a[128:131], a[96:97], v[78:79], a[128:131]// 000000008A04: D3E18080 0E029D60
	ds_read_b128 v[52:55], v23 offset:17408                    // 000000008A0C: D9FE4400 34000017
	v_mfma_f32_16x16x16_bf16 a[132:135], a[98:99], v[78:79], a[132:135]// 000000008A14: D3E18084 0E129D62
	v_mfma_f32_16x16x16_bf16 a[136:139], a[100:101], v[78:79], a[136:139]// 000000008A1C: D3E18088 0E229D64
	ds_read_b128 v[56:59], v23 offset:18560                    // 000000008A24: D9FE4880 38000017
	v_mfma_f32_16x16x16_bf16 a[140:143], a[102:103], v[78:79], a[140:143]// 000000008A2C: D3E1808C 0E329D66
	global_atomic_pk_add_bf16 v8, v157, s[32:33]               // 000000008A34: DD488000 00209D08
	v_mfma_f32_16x16x16_bf16 a[144:147], a[96:97], v[80:81], a[144:147]// 000000008A3C: D3E18090 0E42A160
	ds_read_b128 v[60:63], v23 offset:19712                    // 000000008A44: D9FE4D00 3C000017
	v_mfma_f32_16x16x16_bf16 a[148:151], a[98:99], v[80:81], a[148:151]// 000000008A4C: D3E18094 0E52A162
	v_mfma_f32_16x16x16_bf16 a[152:155], a[100:101], v[80:81], a[152:155]// 000000008A54: D3E18098 0E62A164
	ds_read_b128 v[64:67], v23 offset:20864                    // 000000008A5C: D9FE5180 40000017
	v_mfma_f32_16x16x16_bf16 a[156:159], a[102:103], v[80:81], a[156:159]// 000000008A64: D3E1809C 0E72A166
	v_mfma_f32_16x16x16_bf16 a[112:115], a[104:105], v[82:83], a[112:115]// 000000008A6C: D3E18070 0DC2A568
	ds_read_b128 v[68:71], v23 offset:22016                    // 000000008A74: D9FE5600 44000017
	v_mfma_f32_16x16x16_bf16 a[116:119], a[106:107], v[82:83], a[116:119]// 000000008A7C: D3E18074 0DD2A56A
	global_atomic_pk_add_bf16 v10, v158, s[32:33]              // 000000008A84: DD488000 00209E0A
	v_mfma_f32_16x16x16_bf16 a[120:123], a[108:109], v[82:83], a[120:123]// 000000008A8C: D3E18078 0DE2A56C
	ds_read_b128 v[72:75], v23 offset:23168                    // 000000008A94: D9FE5A80 48000017
	v_mfma_f32_16x16x16_bf16 a[124:127], a[110:111], v[82:83], a[124:127]// 000000008A9C: D3E1807C 0DF2A56E
	v_mfma_f32_16x16x16_bf16 a[128:131], a[104:105], v[84:85], a[128:131]// 000000008AA4: D3E18080 0E02A968
	ds_write_b32 v19, v104 offset:13056                        // 000000008AAC: D81A3300 00006813
	v_mfma_f32_16x16x16_bf16 a[132:135], a[106:107], v[84:85], a[132:135]// 000000008AB4: D3E18084 0E12A96A
	v_mfma_f32_16x16x16_bf16 a[136:139], a[108:109], v[84:85], a[136:139]// 000000008ABC: D3E18088 0E22A96C
	ds_write_b32 v19, v105 offset:14112                        // 000000008AC4: D81A3720 00006913
	v_mfma_f32_16x16x16_bf16 a[140:143], a[110:111], v[84:85], a[140:143]// 000000008ACC: D3E1808C 0E32A96E
	global_atomic_pk_add_bf16 v12, v159, s[32:33]              // 000000008AD4: DD488000 00209F0C
	v_mfma_f32_16x16x16_bf16 a[144:147], a[104:105], v[86:87], a[144:147]// 000000008ADC: D3E18090 0E42AD68
	ds_write_b32 v19, v106 offset:15232                        // 000000008AE4: D81A3B80 00006A13
	v_mfma_f32_16x16x16_bf16 a[148:151], a[106:107], v[86:87], a[148:151]// 000000008AEC: D3E18094 0E52AD6A
	v_mfma_f32_16x16x16_bf16 a[152:155], a[108:109], v[86:87], a[152:155]// 000000008AF4: D3E18098 0E62AD6C
	ds_write_b32 v19, v107 offset:16288                        // 000000008AFC: D81A3FA0 00006B13
	v_mfma_f32_16x16x16_bf16 a[156:159], a[110:111], v[86:87], a[156:159]// 000000008B04: D3E1809C 0E72AD6E
	s_waitcnt vmcnt(4) lgkmcnt(4)                              // 000000008B0C: BF8C0474
	s_barrier                                                  // 000000008B10: BF8A0000
	v_mfma_f32_16x16x16_bf16 v[148:151], a[24:25], v[52:53], 0 // 000000008B14: D3E10094 0A026918
	ds_read_b128 a[96:99], v16                                 // 000000008B1C: DBFE0000 60000010
	buffer_load_dword v40, v1, s[8:11], 0 idxen                // 000000008B24: E0502000 80022801
	v_mfma_f32_16x16x16_bf16 v[148:151], a[28:29], v[54:55], v[148:151]// 000000008B2C: D3E10094 0E526D1C
	v_mul_f32_e32 v140, s49, v140                              // 000000008B34: 0B191831
	v_mul_f32_e32 v144, s49, v144                              // 000000008B38: 0B212031
	s_nop 0                                                    // 000000008B3C: BF800000
	v_mfma_f32_16x16x16_bf16 v[148:151], a[32:33], v[56:57], v[148:151]// 000000008B40: D3E10094 0E527120
	ds_read_b128 a[100:103], v16 offset:512                    // 000000008B48: DBFE0200 64000010
	buffer_load_dword v41, v2, s[8:11], 0 idxen                // 000000008B50: E0502000 80022902
	v_mfma_f32_16x16x16_bf16 v[148:151], a[36:37], v[58:59], v[148:151]// 000000008B58: D3E10094 0E527524
	v_mfma_f32_16x16x16_bf16 v[148:151], a[40:41], v[60:61], v[148:151]// 000000008B60: D3E10094 0E527928
	ds_read_b128 a[104:107], v16 offset:2176                   // 000000008B68: DBFE0880 68000010
	buffer_load_dword v42, v3, s[8:11], 0 idxen                // 000000008B70: E0502000 80022A03
	v_mfma_f32_16x16x16_bf16 v[148:151], a[44:45], v[62:63], v[148:151]// 000000008B78: D3E10094 0E527D2C
	v_perm_b32 v100, v37, v36, s63                             // 000000008B80: D1ED0064 00FE4925
	v_perm_b32 v101, v37, v36, s64                             // 000000008B88: D1ED0065 01024925
	v_mfma_f32_16x16x16_bf16 v[148:151], a[48:49], v[64:65], v[148:151]// 000000008B90: D3E10094 0E528130
	ds_read_b128 a[108:111], v16 offset:2688                   // 000000008B98: DBFE0A80 6C000010
	buffer_load_dword v43, v4, s[8:11], 0 idxen                // 000000008BA0: E0502000 80022B04
	v_mfma_f32_16x16x16_bf16 v[148:151], a[52:53], v[66:67], v[148:151]// 000000008BA8: D3E10094 0E528534
	v_perm_b32 v102, v39, v38, s63                             // 000000008BB0: D1ED0066 00FE4D27
	v_perm_b32 v103, v39, v38, s64                             // 000000008BB8: D1ED0067 01024D27
	v_mfma_f32_16x16x16_bf16 v[148:151], a[56:57], v[68:69], v[148:151]// 000000008BC0: D3E10094 0E528938
	ds_read_b128 v[108:111], v16 offset:8704                   // 000000008BC8: D9FE2200 6C000010
	buffer_load_dword v48, v1, s[20:23], 0 idxen               // 000000008BD0: E0502000 80053001
	v_mfma_f32_16x16x16_bf16 v[148:151], a[60:61], v[70:71], v[148:151]// 000000008BD8: D3E10094 0E528D3C
	v_perm_b32 v104, v45, v44, s63                             // 000000008BE0: D1ED0068 00FE592D
	v_perm_b32 v105, v45, v44, s64                             // 000000008BE8: D1ED0069 0102592D
	v_mfma_f32_16x16x16_bf16 v[148:151], a[64:65], v[72:73], v[148:151]// 000000008BF0: D3E10094 0E529140
	ds_read_b128 v[112:115], v16 offset:9216                   // 000000008BF8: D9FE2400 70000010
	buffer_load_dword v49, v2, s[20:23], 0 idxen               // 000000008C00: E0502000 80053102
	v_mfma_f32_16x16x16_bf16 v[148:151], a[68:69], v[74:75], v[148:151]// 000000008C08: D3E10094 0E529544
	v_perm_b32 v106, v47, v46, s63                             // 000000008C10: D1ED006A 00FE5D2F
	v_perm_b32 v107, v47, v46, s64                             // 000000008C18: D1ED006B 01025D2F
	v_mfma_f32_16x16x16_bf16 v[152:155], a[26:27], v[52:53], 0 // 000000008C20: D3E10098 0A02691A
	ds_read_b128 v[116:119], v16 offset:10880                  // 000000008C28: D9FE2A80 74000010
	buffer_load_dword v50, v3, s[20:23], 0 idxen               // 000000008C30: E0502000 80053203
	v_mfma_f32_16x16x16_bf16 v[152:155], a[30:31], v[54:55], v[152:155]// 000000008C38: D3E10098 0E626D1E
	v_mov_b32_dpp v143, v140 quad_perm:[3,3,3,3] row_mask:0xf bank_mask:0xf// 000000008C40: 7F1E02FA FF00FF8C
	v_mov_b32_dpp v142, v140 quad_perm:[2,2,2,2] row_mask:0xf bank_mask:0xf// 000000008C48: 7F1C02FA FF00AA8C
	v_mov_b32_dpp v141, v140 quad_perm:[1,1,1,1] row_mask:0xf bank_mask:0xf// 000000008C50: 7F1A02FA FF00558C
	v_mov_b32_dpp v140, v140 quad_perm:[0,0,0,0] row_mask:0xf bank_mask:0xf// 000000008C58: 7F1802FA FF00008C
	v_mfma_f32_16x16x16_bf16 v[152:155], a[34:35], v[56:57], v[152:155]// 000000008C60: D3E10098 0E627122
	ds_read_b128 v[120:123], v16 offset:11392                  // 000000008C68: D9FE2C80 78000010
	buffer_load_dword v51, v4, s[20:23], 0 idxen               // 000000008C70: E0502000 80053304
	v_mfma_f32_16x16x16_bf16 v[152:155], a[38:39], v[58:59], v[152:155]// 000000008C78: D3E10098 0E627526
	v_mov_b32_dpp v147, v144 quad_perm:[3,3,3,3] row_mask:0xf bank_mask:0xf// 000000008C80: 7F2602FA FF00FF90
	v_mov_b32_dpp v146, v144 quad_perm:[2,2,2,2] row_mask:0xf bank_mask:0xf// 000000008C88: 7F2402FA FF00AA90
	v_mov_b32_dpp v145, v144 quad_perm:[1,1,1,1] row_mask:0xf bank_mask:0xf// 000000008C90: 7F2202FA FF005590
	v_mov_b32_dpp v144, v144 quad_perm:[0,0,0,0] row_mask:0xf bank_mask:0xf// 000000008C98: 7F2002FA FF000090
	s_add_u32 s60, 0x80, s59                                   // 000000008CA0: 803C3BFF 00000080
	v_mfma_f32_16x16x16_bf16 v[152:155], a[42:43], v[60:61], v[152:155]// 000000008CA8: D3E10098 0E62792A
	buffer_load_dword v15, s[24:27], 0 idxen lds               // 000000008CB0: E0512000 8006000F
	v_mfma_f32_16x16x16_bf16 v[152:155], a[46:47], v[62:63], v[152:155]// 000000008CB8: D3E10098 0E627D2E
	s_cmp_lt_u32 s60, s58                                      // 000000008CC0: BF0A3A3C
	s_cselect_b32 s68, s68, 0                                  // 000000008CC4: 85448044
	s_cselect_b32 s69, s69, 0                                  // 000000008CC8: 85458045
	v_mfma_f32_16x16x16_bf16 v[152:155], a[50:51], v[64:65], v[152:155]// 000000008CCC: D3E10098 0E628132
	s_add_u32 s8, s68, s8                                      // 000000008CD4: 80080844
	s_addc_u32 s9, 0, s9                                       // 000000008CD8: 82090980
	v_mfma_f32_16x16x16_bf16 v[152:155], a[54:55], v[66:67], v[152:155]// 000000008CDC: D3E10098 0E628536
	s_add_u32 s20, s68, s20                                    // 000000008CE4: 80141444
	s_addc_u32 s21, 0, s21                                     // 000000008CE8: 82151580
	v_mfma_f32_16x16x16_bf16 v[152:155], a[58:59], v[68:69], v[152:155]// 000000008CEC: D3E10098 0E62893A
	s_mov_b32 m0, s76                                          // 000000008CF4: BEFC004C
	v_add_u32_e32 v15, s69, v15                                // 000000008CF8: 681E1E45
	v_mfma_f32_16x16x16_bf16 v[152:155], a[62:63], v[70:71], v[152:155]// 000000008CFC: D3E10098 0E628D3E
	s_cmp_ge_u32 s59, 32                                       // 000000008D04: BF09A03B
	s_cselect_b32 s66, s67, s66                                // 000000008D08: 85424243
	v_mfma_f32_16x16x16_bf16 v[152:155], a[66:67], v[72:73], v[152:155]// 000000008D0C: D3E10098 0E629142
	s_addk_i32 s59, 0x20                                       // 000000008D14: B73B0020
	s_nop 0                                                    // 000000008D18: BF800000
	s_cmp_lt_i32 s59, s58                                      // 000000008D1C: BF043A3B
	v_mfma_f32_16x16x16_bf16 v[152:155], a[70:71], v[74:75], v[152:155]// 000000008D20: D3E10098 0E629546
	s_cbranch_scc0 label_0F0D                                  // 000000008D28: BF84FB42
	s_waitcnt lgkmcnt(4)                                       // 000000008D2C: BF8CC47F
	s_barrier                                                  // 000000008D30: BF8A0000
	v_mfma_f32_16x16x16_bf16 v[52:55], a[96:97], a[0:1], 0     // 000000008D34: D3E10034 1A020160
	v_mul_f32_e32 v148, s48, v148                              // 000000008D3C: 0B292830
	v_mul_f32_e32 v149, s48, v149                              // 000000008D40: 0B2B2A30
	v_mfma_f32_16x16x16_bf16 v[52:55], a[98:99], a[2:3], v[52:55]// 000000008D44: D3E10034 1CD20562
	ds_write_b32 v17, v44 offset:8704                          // 000000008D4C: D81A2200 00002C11
	ds_write_b32 v17, v45 offset:9760                          // 000000008D54: D81A2620 00002D11
	v_mfma_f32_16x16x16_bf16 v[52:55], a[100:101], a[4:5], v[52:55]// 000000008D5C: D3E10034 1CD20964
	v_mul_f32_e32 v150, s48, v150                              // 000000008D64: 0B2D2C30
	v_mul_f32_e32 v151, s48, v151                              // 000000008D68: 0B2F2E30
	v_mfma_f32_16x16x16_bf16 v[52:55], a[102:103], a[6:7], v[52:55]// 000000008D6C: D3E10034 1CD20D66
	ds_write_b32 v17, v46 offset:10880                         // 000000008D74: D81A2A80 00002E11
	ds_write_b32 v17, v47 offset:11936                         // 000000008D7C: D81A2EA0 00002F11
	v_mfma_f32_16x16x16_bf16 v[56:59], a[96:97], a[8:9], 0     // 000000008D84: D3E10038 1A021160
	v_mul_f32_e32 v152, s48, v152                              // 000000008D8C: 0B313030
	v_mul_f32_e32 v153, s48, v153                              // 000000008D90: 0B333230
	v_mfma_f32_16x16x16_bf16 v[56:59], a[98:99], a[10:11], v[56:59]// 000000008D94: D3E10038 1CE21562
	v_mul_f32_e32 v154, s48, v154                              // 000000008D9C: 0B353430
	v_mul_f32_e32 v155, s48, v155                              // 000000008DA0: 0B373630
	v_mfma_f32_16x16x16_bf16 v[56:59], a[100:101], a[12:13], v[56:59]// 000000008DA4: D3E10038 1CE21964
	v_cmp_u_f32_e64 s[74:75], v148, v148                       // 000000008DAC: D048004A 00032994
	v_bfe_u32 v226, v148, 16, 1                                // 000000008DB4: D1C800E2 02052194
	v_add3_u32 v226, v148, v226, v229                          // 000000008DBC: D1FF00E2 0797C594
	v_cndmask_b32_e64 v32, v226, v228, s[74:75]                // 000000008DC4: D1000020 012BC9E2
	v_lshrrev_b32_e32 v32, 16, v32                             // 000000008DCC: 20404090
	v_cmp_u_f32_e64 s[74:75], v149, v149                       // 000000008DD0: D048004A 00032B95
	v_bfe_u32 v226, v149, 16, 1                                // 000000008DD8: D1C800E2 02052195
	v_add3_u32 v226, v149, v226, v229                          // 000000008DE0: D1FF00E2 0797C595
	v_cndmask_b32_e64 v33, v226, v228, s[74:75]                // 000000008DE8: D1000021 012BC9E2
	v_and_or_b32 v148, v33, v227, v32                          // 000000008DF0: D2010094 0483C721
	v_cmp_u_f32_e64 s[74:75], v150, v150                       // 000000008DF8: D048004A 00032D96
	v_bfe_u32 v226, v150, 16, 1                                // 000000008E00: D1C800E2 02052196
	v_add3_u32 v226, v150, v226, v229                          // 000000008E08: D1FF00E2 0797C596
	v_cndmask_b32_e64 v32, v226, v228, s[74:75]                // 000000008E10: D1000020 012BC9E2
	v_lshrrev_b32_e32 v32, 16, v32                             // 000000008E18: 20404090
	v_cmp_u_f32_e64 s[74:75], v151, v151                       // 000000008E1C: D048004A 00032F97
	v_bfe_u32 v226, v151, 16, 1                                // 000000008E24: D1C800E2 02052197
	v_add3_u32 v226, v151, v226, v229                          // 000000008E2C: D1FF00E2 0797C597
	v_cndmask_b32_e64 v33, v226, v228, s[74:75]                // 000000008E34: D1000021 012BC9E2
	v_and_or_b32 v149, v33, v227, v32                          // 000000008E3C: D2010095 0483C721
	v_mfma_f32_16x16x16_bf16 v[56:59], a[102:103], a[14:15], v[56:59]// 000000008E44: D3E10038 1CE21D66
	v_cmp_u_f32_e64 s[74:75], v152, v152                       // 000000008E4C: D048004A 00033198
	v_bfe_u32 v226, v152, 16, 1                                // 000000008E54: D1C800E2 02052198
	v_add3_u32 v226, v152, v226, v229                          // 000000008E5C: D1FF00E2 0797C598
	v_cndmask_b32_e64 v32, v226, v228, s[74:75]                // 000000008E64: D1000020 012BC9E2
	v_lshrrev_b32_e32 v32, 16, v32                             // 000000008E6C: 20404090
	v_cmp_u_f32_e64 s[74:75], v153, v153                       // 000000008E70: D048004A 00033399
	v_bfe_u32 v226, v153, 16, 1                                // 000000008E78: D1C800E2 02052199
	v_add3_u32 v226, v153, v226, v229                          // 000000008E80: D1FF00E2 0797C599
	v_cndmask_b32_e64 v33, v226, v228, s[74:75]                // 000000008E88: D1000021 012BC9E2
	v_and_or_b32 v150, v33, v227, v32                          // 000000008E90: D2010096 0483C721
	v_cmp_u_f32_e64 s[74:75], v154, v154                       // 000000008E98: D048004A 0003359A
	v_bfe_u32 v226, v154, 16, 1                                // 000000008EA0: D1C800E2 0205219A
	v_add3_u32 v226, v154, v226, v229                          // 000000008EA8: D1FF00E2 0797C59A
	v_cndmask_b32_e64 v32, v226, v228, s[74:75]                // 000000008EB0: D1000020 012BC9E2
	v_lshrrev_b32_e32 v32, 16, v32                             // 000000008EB8: 20404090
	v_cmp_u_f32_e64 s[74:75], v155, v155                       // 000000008EBC: D048004A 0003379B
	v_bfe_u32 v226, v155, 16, 1                                // 000000008EC4: D1C800E2 0205219B
	v_add3_u32 v226, v155, v226, v229                          // 000000008ECC: D1FF00E2 0797C59B
	v_cndmask_b32_e64 v33, v226, v228, s[74:75]                // 000000008ED4: D1000021 012BC9E2
	v_and_or_b32 v151, v33, v227, v32                          // 000000008EDC: D2010097 0483C721
	v_mfma_f32_16x16x16_bf16 v[60:63], a[96:97], a[16:17], 0   // 000000008EE4: D3E1003C 1A022160
	v_mfma_f32_16x16x16_bf16 v[60:63], a[98:99], a[18:19], v[60:63]// 000000008EEC: D3E1003C 1CF22562
	ds_write_b64 v26, v[148:149] offset:31232                  // 000000008EF4: D89A7A00 0000941A
	v_mfma_f32_16x16x16_bf16 v[60:63], a[100:101], a[20:21], v[60:63]// 000000008EFC: D3E1003C 1CF22964
	v_mfma_f32_16x16x16_bf16 v[60:63], a[102:103], a[22:23], v[60:63]// 000000008F04: D3E1003C 1CF22D66
	ds_write_b64 v26, v[150:151] offset:31776                  // 000000008F0C: D89A7C20 0000961A
	v_mfma_f32_16x16x16_bf16 v[64:67], a[104:105], a[0:1], 0   // 000000008F14: D3E10040 1A020168
	v_mfma_f32_16x16x16_bf16 v[64:67], a[106:107], a[2:3], v[64:67]// 000000008F1C: D3E10040 1D02056A
	ds_read_b128 v[124:127], v18 offset:13056                  // 000000008F24: D9FE3300 7C000012
	ds_write_b32 v17, v36                                      // 000000008F2C: D81A0000 00002411
	v_mfma_f32_16x16x16_bf16 v[64:67], a[108:109], a[4:5], v[64:67]// 000000008F34: D3E10040 1D02096C
	v_mfma_f32_16x16x16_bf16 v[64:67], a[110:111], a[6:7], v[64:67]// 000000008F3C: D3E10040 1D020D6E
	v_mfma_f32_16x16x16_bf16 v[68:71], a[104:105], a[8:9], 0   // 000000008F44: D3E10044 1A021168
	ds_read_b128 v[128:131], v18 offset:13568                  // 000000008F4C: D9FE3500 80000012
	ds_write_b32 v17, v37 offset:1056                          // 000000008F54: D81A0420 00002511
	v_mfma_f32_16x16x16_bf16 v[68:71], a[106:107], a[10:11], v[68:71]// 000000008F5C: D3E10044 1D12156A
	v_mfma_f32_16x16x16_bf16 v[68:71], a[108:109], a[12:13], v[68:71]// 000000008F64: D3E10044 1D12196C
	v_mfma_f32_16x16x16_bf16 v[68:71], a[110:111], a[14:15], v[68:71]// 000000008F6C: D3E10044 1D121D6E
	ds_read_b128 v[132:135], v18 offset:15232                  // 000000008F74: D9FE3B80 84000012
	ds_write_b32 v17, v38 offset:2176                          // 000000008F7C: D81A0880 00002611
	v_mfma_f32_16x16x16_bf16 v[72:75], a[104:105], a[16:17], 0 // 000000008F84: D3E10048 1A022168
	v_mfma_f32_16x16x16_bf16 v[72:75], a[106:107], a[18:19], v[72:75]// 000000008F8C: D3E10048 1D22256A
	v_mfma_f32_16x16x16_bf16 v[72:75], a[108:109], a[20:21], v[72:75]// 000000008F94: D3E10048 1D22296C
	ds_read_b128 v[136:139], v18 offset:15744                  // 000000008F9C: D9FE3D80 88000012
	ds_write_b32 v17, v39 offset:3232                          // 000000008FA4: D81A0CA0 00002711
	v_mfma_f32_16x16x16_bf16 v[72:75], a[110:111], a[22:23], v[72:75]// 000000008FAC: D3E10048 1D222D6E
	s_cmp_lt_i32 s73, 3                                        // 000000008FB4: BF048349
	s_cbranch_scc0 label_1486                                  // 000000008FB8: BF840017
	s_cmp_eq_i32 s73, 1                                        // 000000008FBC: BF008149
	s_cbranch_scc1 label_1474                                  // 000000008FC0: BF850003
	s_cmp_eq_i32 s73, 2                                        // 000000008FC4: BF008249
	s_cbranch_scc1 label_147D                                  // 000000008FC8: BF85000A
	s_branch label_1486                                        // 000000008FCC: BF820012

0000000000008fd0 <label_1474>:
	v_mov_b32_e32 v56, v230                                    // 000000008FD0: 7E7003E6
	v_mov_b32_e32 v68, v230                                    // 000000008FD4: 7E8803E6
	v_mov_b32_e32 v57, v230                                    // 000000008FD8: 7E7203E6
	v_mov_b32_e32 v69, v230                                    // 000000008FDC: 7E8A03E6
	v_mov_b32_e32 v58, v230                                    // 000000008FE0: 7E7403E6
	v_mov_b32_e32 v70, v230                                    // 000000008FE4: 7E8C03E6
	v_mov_b32_e32 v59, v230                                    // 000000008FE8: 7E7603E6
	v_mov_b32_e32 v71, v230                                    // 000000008FEC: 7E8E03E6
	s_branch label_147D                                        // 000000008FF0: BF820000

0000000000008ff4 <label_147D>:
	v_mov_b32_e32 v60, v230                                    // 000000008FF4: 7E7803E6
	v_mov_b32_e32 v72, v230                                    // 000000008FF8: 7E9003E6
	v_mov_b32_e32 v61, v230                                    // 000000008FFC: 7E7A03E6
	v_mov_b32_e32 v73, v230                                    // 000000009000: 7E9203E6
	v_mov_b32_e32 v62, v230                                    // 000000009004: 7E7C03E6
	v_mov_b32_e32 v74, v230                                    // 000000009008: 7E9403E6
	v_mov_b32_e32 v63, v230                                    // 00000000900C: 7E7E03E6
	v_mov_b32_e32 v75, v230                                    // 000000009010: 7E9603E6
	s_branch label_1486                                        // 000000009014: BF820000

0000000000009018 <label_1486>:
	s_waitcnt lgkmcnt(8)                                       // 000000009018: BF8CC87F
	s_barrier                                                  // 00000000901C: BF8A0000
	v_mfma_f32_16x16x16_bf16 v[76:79], v[108:109], a[72:73], 0 // 000000009020: D3E1004C 1202916C
	v_fma_f32 v52, v52, s57, -v140                             // 000000009028: D1CB0034 86307334
	v_fma_f32 v53, v53, s57, -v141                             // 000000009030: D1CB0035 86347335
	v_fma_f32 v54, v54, s57, -v142                             // 000000009038: D1CB0036 86387336
	v_fma_f32 v55, v55, s57, -v143                             // 000000009040: D1CB0037 863C7337
	v_fma_f32 v56, v56, s57, -v140                             // 000000009048: D1CB0038 86307338
	v_fma_f32 v57, v57, s57, -v141                             // 000000009050: D1CB0039 86347339
	v_mfma_f32_16x16x16_bf16 v[76:79], v[110:111], a[74:75], v[76:79]// 000000009058: D3E1004C 1532956E
	ds_read_b128 a[96:99], v18 offset:4352                     // 000000009060: DBFE1100 60000012
	ds_read_b128 a[100:103], v18 offset:4864                   // 000000009068: DBFE1300 64000012
	v_mfma_f32_16x16x16_bf16 v[76:79], v[112:113], a[76:77], v[76:79]// 000000009070: D3E1004C 15329970
	v_fma_f32 v58, v58, s57, -v142                             // 000000009078: D1CB003A 8638733A
	v_fma_f32 v59, v59, s57, -v143                             // 000000009080: D1CB003B 863C733B
	v_fma_f32 v60, v60, s57, -v140                             // 000000009088: D1CB003C 8630733C
	v_fma_f32 v61, v61, s57, -v141                             // 000000009090: D1CB003D 8634733D
	v_fma_f32 v62, v62, s57, -v142                             // 000000009098: D1CB003E 8638733E
	v_fma_f32 v63, v63, s57, -v143                             // 0000000090A0: D1CB003F 863C733F
	v_mfma_f32_16x16x16_bf16 v[76:79], v[114:115], a[78:79], v[76:79]// 0000000090A8: D3E1004C 15329D72
	v_fma_f32 v64, v64, s57, -v144                             // 0000000090B0: D1CB0040 86407340
	v_fma_f32 v65, v65, s57, -v145                             // 0000000090B8: D1CB0041 86447341
	v_fma_f32 v66, v66, s57, -v146                             // 0000000090C0: D1CB0042 86487342
	v_fma_f32 v67, v67, s57, -v147                             // 0000000090C8: D1CB0043 864C7343
	v_fma_f32 v68, v68, s57, -v144                             // 0000000090D0: D1CB0044 86407344
	v_fma_f32 v69, v69, s57, -v145                             // 0000000090D8: D1CB0045 86447345
	v_mfma_f32_16x16x16_bf16 v[80:83], v[108:109], a[80:81], 0 // 0000000090E0: D3E10050 1202A16C
	v_fma_f32 v70, v70, s57, -v146                             // 0000000090E8: D1CB0046 86487346
	v_fma_f32 v71, v71, s57, -v147                             // 0000000090F0: D1CB0047 864C7347
	v_fma_f32 v72, v72, s57, -v144                             // 0000000090F8: D1CB0048 86407348
	v_fma_f32 v73, v73, s57, -v145                             // 000000009100: D1CB0049 86447349
	v_fma_f32 v74, v74, s57, -v146                             // 000000009108: D1CB004A 8648734A
	v_fma_f32 v75, v75, s57, -v147                             // 000000009110: D1CB004B 864C734B
	v_mfma_f32_16x16x16_bf16 v[80:83], v[110:111], a[82:83], v[80:83]// 000000009118: D3E10050 1542A56E
	ds_read_b128 a[104:107], v18 offset:6528                   // 000000009120: DBFE1980 68000012
	ds_read_b128 a[108:111], v18 offset:7040                   // 000000009128: DBFE1B80 6C000012
	v_mfma_f32_16x16x16_bf16 v[80:83], v[112:113], a[84:85], v[80:83]// 000000009130: D3E10050 1542A970
	v_exp_f32_e32 v52, v52                                     // 000000009138: 7E684134
	v_exp_f32_e32 v53, v53                                     // 00000000913C: 7E6A4135
	v_mfma_f32_16x16x16_bf16 v[80:83], v[114:115], a[86:87], v[80:83]// 000000009140: D3E10050 1542AD72
	v_exp_f32_e32 v54, v54                                     // 000000009148: 7E6C4136
	v_exp_f32_e32 v55, v55                                     // 00000000914C: 7E6E4137
	v_mfma_f32_16x16x16_bf16 v[84:87], v[108:109], a[88:89], 0 // 000000009150: D3E10054 1202B16C
	v_exp_f32_e32 v56, v56                                     // 000000009158: 7E704138
	v_exp_f32_e32 v57, v57                                     // 00000000915C: 7E724139
	v_mfma_f32_16x16x16_bf16 v[84:87], v[110:111], a[90:91], v[84:87]// 000000009160: D3E10054 1552B56E
	ds_read_b32 v156, v25 offset:31232                         // 000000009168: D86C7A00 9C000019
	ds_read_b32 v157, v25 offset:31248                         // 000000009170: D86C7A10 9D000019
	v_mfma_f32_16x16x16_bf16 v[84:87], v[112:113], a[92:93], v[84:87]// 000000009178: D3E10054 1552B970
	v_exp_f32_e32 v58, v58                                     // 000000009180: 7E74413A
	v_exp_f32_e32 v59, v59                                     // 000000009184: 7E76413B
	v_mfma_f32_16x16x16_bf16 v[84:87], v[114:115], a[94:95], v[84:87]// 000000009188: D3E10054 1552BD72
	ds_read_b32 v158, v25 offset:31264                         // 000000009190: D86C7A20 9E000019
	ds_read_b32 v159, v25 offset:31280                         // 000000009198: D86C7A30 9F000019
	v_mfma_f32_16x16x16_bf16 v[88:91], v[116:117], a[72:73], 0 // 0000000091A0: D3E10058 12029174
	v_exp_f32_e32 v60, v60                                     // 0000000091A8: 7E78413C
	v_exp_f32_e32 v61, v61                                     // 0000000091AC: 7E7A413D
	v_mfma_f32_16x16x16_bf16 v[88:91], v[118:119], a[74:75], v[88:91]// 0000000091B0: D3E10058 15629576
	v_exp_f32_e32 v62, v62                                     // 0000000091B8: 7E7C413E
	v_exp_f32_e32 v63, v63                                     // 0000000091BC: 7E7E413F
	v_mfma_f32_16x16x16_bf16 v[88:91], v[120:121], a[76:77], v[88:91]// 0000000091C0: D3E10058 15629978
	v_exp_f32_e32 v64, v64                                     // 0000000091C8: 7E804140
	v_exp_f32_e32 v65, v65                                     // 0000000091CC: 7E824141
	v_mfma_f32_16x16x16_bf16 v[88:91], v[122:123], a[78:79], v[88:91]// 0000000091D0: D3E10058 15629D7A
	v_exp_f32_e32 v66, v66                                     // 0000000091D8: 7E844142
	v_exp_f32_e32 v67, v67                                     // 0000000091DC: 7E864143
	v_mfma_f32_16x16x16_bf16 v[92:95], v[116:117], a[80:81], 0 // 0000000091E0: D3E1005C 1202A174
	v_exp_f32_e32 v68, v68                                     // 0000000091E8: 7E884144
	v_exp_f32_e32 v69, v69                                     // 0000000091EC: 7E8A4145
	v_mfma_f32_16x16x16_bf16 v[92:95], v[118:119], a[82:83], v[92:95]// 0000000091F0: D3E1005C 1572A576
	v_exp_f32_e32 v70, v70                                     // 0000000091F8: 7E8C4146
	v_exp_f32_e32 v71, v71                                     // 0000000091FC: 7E8E4147
	v_mfma_f32_16x16x16_bf16 v[92:95], v[120:121], a[84:85], v[92:95]// 000000009200: D3E1005C 1572A978
	v_exp_f32_e32 v72, v72                                     // 000000009208: 7E904148
	v_exp_f32_e32 v73, v73                                     // 00000000920C: 7E924149
	v_mfma_f32_16x16x16_bf16 v[92:95], v[122:123], a[86:87], v[92:95]// 000000009210: D3E1005C 1572AD7A
	v_exp_f32_e32 v74, v74                                     // 000000009218: 7E94414A
	v_exp_f32_e32 v75, v75                                     // 00000000921C: 7E96414B
	v_mfma_f32_16x16x16_bf16 v[96:99], v[116:117], a[88:89], 0 // 000000009220: D3E10060 1202B174
	v_cmp_u_f32_e64 s[74:75], v52, v52                         // 000000009228: D048004A 00026934
	v_bfe_u32 v226, v52, 16, 1                                 // 000000009230: D1C800E2 02052134
	v_add3_u32 v226, v52, v226, v229                           // 000000009238: D1FF00E2 0797C534
	v_cndmask_b32_e64 v32, v226, v228, s[74:75]                // 000000009240: D1000020 012BC9E2
	v_lshrrev_b32_e32 v32, 16, v32                             // 000000009248: 20404090
	v_cmp_u_f32_e64 s[74:75], v53, v53                         // 00000000924C: D048004A 00026B35
	v_bfe_u32 v226, v53, 16, 1                                 // 000000009254: D1C800E2 02052135
	v_add3_u32 v226, v53, v226, v229                           // 00000000925C: D1FF00E2 0797C535
	v_cndmask_b32_e64 v33, v226, v228, s[74:75]                // 000000009264: D1000021 012BC9E2
	v_and_or_b32 v164, v33, v227, v32                          // 00000000926C: D20100A4 0483C721
	v_cmp_u_f32_e64 s[74:75], v54, v54                         // 000000009274: D048004A 00026D36
	v_bfe_u32 v226, v54, 16, 1                                 // 00000000927C: D1C800E2 02052136
	v_add3_u32 v226, v54, v226, v229                           // 000000009284: D1FF00E2 0797C536
	v_cndmask_b32_e64 v32, v226, v228, s[74:75]                // 00000000928C: D1000020 012BC9E2
	v_lshrrev_b32_e32 v32, 16, v32                             // 000000009294: 20404090
	v_cmp_u_f32_e64 s[74:75], v55, v55                         // 000000009298: D048004A 00026F37
	v_bfe_u32 v226, v55, 16, 1                                 // 0000000092A0: D1C800E2 02052137
	v_add3_u32 v226, v55, v226, v229                           // 0000000092A8: D1FF00E2 0797C537
	v_cndmask_b32_e64 v33, v226, v228, s[74:75]                // 0000000092B0: D1000021 012BC9E2
	v_and_or_b32 v165, v33, v227, v32                          // 0000000092B8: D20100A5 0483C721
	v_cmp_u_f32_e64 s[74:75], v56, v56                         // 0000000092C0: D048004A 00027138
	v_bfe_u32 v226, v56, 16, 1                                 // 0000000092C8: D1C800E2 02052138
	v_add3_u32 v226, v56, v226, v229                           // 0000000092D0: D1FF00E2 0797C538
	v_cndmask_b32_e64 v32, v226, v228, s[74:75]                // 0000000092D8: D1000020 012BC9E2
	v_lshrrev_b32_e32 v32, 16, v32                             // 0000000092E0: 20404090
	v_cmp_u_f32_e64 s[74:75], v57, v57                         // 0000000092E4: D048004A 00027339
	v_bfe_u32 v226, v57, 16, 1                                 // 0000000092EC: D1C800E2 02052139
	v_add3_u32 v226, v57, v226, v229                           // 0000000092F4: D1FF00E2 0797C539
	v_cndmask_b32_e64 v33, v226, v228, s[74:75]                // 0000000092FC: D1000021 012BC9E2
	v_and_or_b32 v166, v33, v227, v32                          // 000000009304: D20100A6 0483C721
	v_cmp_u_f32_e64 s[74:75], v58, v58                         // 00000000930C: D048004A 0002753A
	v_bfe_u32 v226, v58, 16, 1                                 // 000000009314: D1C800E2 0205213A
	v_add3_u32 v226, v58, v226, v229                           // 00000000931C: D1FF00E2 0797C53A
	v_cndmask_b32_e64 v32, v226, v228, s[74:75]                // 000000009324: D1000020 012BC9E2
	v_lshrrev_b32_e32 v32, 16, v32                             // 00000000932C: 20404090
	v_cmp_u_f32_e64 s[74:75], v59, v59                         // 000000009330: D048004A 0002773B
	v_bfe_u32 v226, v59, 16, 1                                 // 000000009338: D1C800E2 0205213B
	v_add3_u32 v226, v59, v226, v229                           // 000000009340: D1FF00E2 0797C53B
	v_cndmask_b32_e64 v33, v226, v228, s[74:75]                // 000000009348: D1000021 012BC9E2
	v_and_or_b32 v167, v33, v227, v32                          // 000000009350: D20100A7 0483C721
	v_cmp_u_f32_e64 s[74:75], v60, v60                         // 000000009358: D048004A 0002793C
	v_bfe_u32 v226, v60, 16, 1                                 // 000000009360: D1C800E2 0205213C
	v_add3_u32 v226, v60, v226, v229                           // 000000009368: D1FF00E2 0797C53C
	v_cndmask_b32_e64 v32, v226, v228, s[74:75]                // 000000009370: D1000020 012BC9E2
	v_lshrrev_b32_e32 v32, 16, v32                             // 000000009378: 20404090
	v_cmp_u_f32_e64 s[74:75], v61, v61                         // 00000000937C: D048004A 00027B3D
	v_bfe_u32 v226, v61, 16, 1                                 // 000000009384: D1C800E2 0205213D
	v_add3_u32 v226, v61, v226, v229                           // 00000000938C: D1FF00E2 0797C53D
	v_cndmask_b32_e64 v33, v226, v228, s[74:75]                // 000000009394: D1000021 012BC9E2
	v_and_or_b32 v168, v33, v227, v32                          // 00000000939C: D20100A8 0483C721
	v_cmp_u_f32_e64 s[74:75], v62, v62                         // 0000000093A4: D048004A 00027D3E
	v_bfe_u32 v226, v62, 16, 1                                 // 0000000093AC: D1C800E2 0205213E
	v_add3_u32 v226, v62, v226, v229                           // 0000000093B4: D1FF00E2 0797C53E
	v_cndmask_b32_e64 v32, v226, v228, s[74:75]                // 0000000093BC: D1000020 012BC9E2
	v_lshrrev_b32_e32 v32, 16, v32                             // 0000000093C4: 20404090
	v_cmp_u_f32_e64 s[74:75], v63, v63                         // 0000000093C8: D048004A 00027F3F
	v_bfe_u32 v226, v63, 16, 1                                 // 0000000093D0: D1C800E2 0205213F
	v_add3_u32 v226, v63, v226, v229                           // 0000000093D8: D1FF00E2 0797C53F
	v_cndmask_b32_e64 v33, v226, v228, s[74:75]                // 0000000093E0: D1000021 012BC9E2
	v_and_or_b32 v169, v33, v227, v32                          // 0000000093E8: D20100A9 0483C721
	v_mfma_f32_16x16x16_bf16 v[96:99], v[118:119], a[90:91], v[96:99]// 0000000093F0: D3E10060 1582B576
	v_cmp_u_f32_e64 s[74:75], v64, v64                         // 0000000093F8: D048004A 00028140
	v_bfe_u32 v226, v64, 16, 1                                 // 000000009400: D1C800E2 02052140
	v_add3_u32 v226, v64, v226, v229                           // 000000009408: D1FF00E2 0797C540
	v_cndmask_b32_e64 v32, v226, v228, s[74:75]                // 000000009410: D1000020 012BC9E2
	v_lshrrev_b32_e32 v32, 16, v32                             // 000000009418: 20404090
	v_cmp_u_f32_e64 s[74:75], v65, v65                         // 00000000941C: D048004A 00028341
	v_bfe_u32 v226, v65, 16, 1                                 // 000000009424: D1C800E2 02052141
	v_add3_u32 v226, v65, v226, v229                           // 00000000942C: D1FF00E2 0797C541
	v_cndmask_b32_e64 v33, v226, v228, s[74:75]                // 000000009434: D1000021 012BC9E2
	v_and_or_b32 v170, v33, v227, v32                          // 00000000943C: D20100AA 0483C721
	v_cmp_u_f32_e64 s[74:75], v66, v66                         // 000000009444: D048004A 00028542
	v_bfe_u32 v226, v66, 16, 1                                 // 00000000944C: D1C800E2 02052142
	v_add3_u32 v226, v66, v226, v229                           // 000000009454: D1FF00E2 0797C542
	v_cndmask_b32_e64 v32, v226, v228, s[74:75]                // 00000000945C: D1000020 012BC9E2
	v_lshrrev_b32_e32 v32, 16, v32                             // 000000009464: 20404090
	v_cmp_u_f32_e64 s[74:75], v67, v67                         // 000000009468: D048004A 00028743
	v_bfe_u32 v226, v67, 16, 1                                 // 000000009470: D1C800E2 02052143
	v_add3_u32 v226, v67, v226, v229                           // 000000009478: D1FF00E2 0797C543
	v_cndmask_b32_e64 v33, v226, v228, s[74:75]                // 000000009480: D1000021 012BC9E2
	v_and_or_b32 v171, v33, v227, v32                          // 000000009488: D20100AB 0483C721
	v_cmp_u_f32_e64 s[74:75], v68, v68                         // 000000009490: D048004A 00028944
	v_bfe_u32 v226, v68, 16, 1                                 // 000000009498: D1C800E2 02052144
	v_add3_u32 v226, v68, v226, v229                           // 0000000094A0: D1FF00E2 0797C544
	v_cndmask_b32_e64 v32, v226, v228, s[74:75]                // 0000000094A8: D1000020 012BC9E2
	v_lshrrev_b32_e32 v32, 16, v32                             // 0000000094B0: 20404090
	v_cmp_u_f32_e64 s[74:75], v69, v69                         // 0000000094B4: D048004A 00028B45
	v_bfe_u32 v226, v69, 16, 1                                 // 0000000094BC: D1C800E2 02052145
	v_add3_u32 v226, v69, v226, v229                           // 0000000094C4: D1FF00E2 0797C545
	v_cndmask_b32_e64 v33, v226, v228, s[74:75]                // 0000000094CC: D1000021 012BC9E2
	v_and_or_b32 v172, v33, v227, v32                          // 0000000094D4: D20100AC 0483C721
	v_cmp_u_f32_e64 s[74:75], v70, v70                         // 0000000094DC: D048004A 00028D46
	v_bfe_u32 v226, v70, 16, 1                                 // 0000000094E4: D1C800E2 02052146
	v_add3_u32 v226, v70, v226, v229                           // 0000000094EC: D1FF00E2 0797C546
	v_cndmask_b32_e64 v32, v226, v228, s[74:75]                // 0000000094F4: D1000020 012BC9E2
	v_lshrrev_b32_e32 v32, 16, v32                             // 0000000094FC: 20404090
	v_cmp_u_f32_e64 s[74:75], v71, v71                         // 000000009500: D048004A 00028F47
	v_bfe_u32 v226, v71, 16, 1                                 // 000000009508: D1C800E2 02052147
	v_add3_u32 v226, v71, v226, v229                           // 000000009510: D1FF00E2 0797C547
	v_cndmask_b32_e64 v33, v226, v228, s[74:75]                // 000000009518: D1000021 012BC9E2
	v_and_or_b32 v173, v33, v227, v32                          // 000000009520: D20100AD 0483C721
	v_cmp_u_f32_e64 s[74:75], v72, v72                         // 000000009528: D048004A 00029148
	v_bfe_u32 v226, v72, 16, 1                                 // 000000009530: D1C800E2 02052148
	v_add3_u32 v226, v72, v226, v229                           // 000000009538: D1FF00E2 0797C548
	v_cndmask_b32_e64 v32, v226, v228, s[74:75]                // 000000009540: D1000020 012BC9E2
	v_lshrrev_b32_e32 v32, 16, v32                             // 000000009548: 20404090
	v_cmp_u_f32_e64 s[74:75], v73, v73                         // 00000000954C: D048004A 00029349
	v_bfe_u32 v226, v73, 16, 1                                 // 000000009554: D1C800E2 02052149
	v_add3_u32 v226, v73, v226, v229                           // 00000000955C: D1FF00E2 0797C549
	v_cndmask_b32_e64 v33, v226, v228, s[74:75]                // 000000009564: D1000021 012BC9E2
	v_and_or_b32 v174, v33, v227, v32                          // 00000000956C: D20100AE 0483C721
	v_cmp_u_f32_e64 s[74:75], v74, v74                         // 000000009574: D048004A 0002954A
	v_bfe_u32 v226, v74, 16, 1                                 // 00000000957C: D1C800E2 0205214A
	v_add3_u32 v226, v74, v226, v229                           // 000000009584: D1FF00E2 0797C54A
	v_cndmask_b32_e64 v32, v226, v228, s[74:75]                // 00000000958C: D1000020 012BC9E2
	v_lshrrev_b32_e32 v32, 16, v32                             // 000000009594: 20404090
	v_cmp_u_f32_e64 s[74:75], v75, v75                         // 000000009598: D048004A 0002974B
	v_bfe_u32 v226, v75, 16, 1                                 // 0000000095A0: D1C800E2 0205214B
	v_add3_u32 v226, v75, v226, v229                           // 0000000095A8: D1FF00E2 0797C54B
	v_cndmask_b32_e64 v33, v226, v228, s[74:75]                // 0000000095B0: D1000021 012BC9E2
	v_and_or_b32 v175, v33, v227, v32                          // 0000000095B8: D20100AF 0483C721
	v_mfma_f32_16x16x16_bf16 v[96:99], v[120:121], a[92:93], v[96:99]// 0000000095C0: D3E10060 1582B978
	s_add_u32 s32, s66, s32                                    // 0000000095C8: 80202042
	s_addc_u32 s33, 0, s33                                     // 0000000095CC: 82212180
	v_mfma_f32_16x16x16_bf16 v[96:99], v[122:123], a[94:95], v[96:99]// 0000000095D0: D3E10060 1582BD7A
	s_waitcnt lgkmcnt(0)                                       // 0000000095D8: BF8CC07F
	s_barrier                                                  // 0000000095DC: BF8A0000
	v_mfma_f32_16x16x16_bf16 v[178:181], v[124:125], v[164:165], v[178:181]// 0000000095E0: D3E100B2 06CB497C
	v_subrev_f32_dpp v76, v176, v76 quad_perm:[0,0,0,0] row_mask:0xf bank_mask:0xf// 0000000095E8: 069898FA FF0000B0
	v_subrev_f32_dpp v77, v176, v77 quad_perm:[1,1,1,1] row_mask:0xf bank_mask:0xf// 0000000095F0: 069A9AFA FF0055B0
	v_subrev_f32_dpp v78, v176, v78 quad_perm:[2,2,2,2] row_mask:0xf bank_mask:0xf// 0000000095F8: 069C9CFA FF00AAB0
	v_subrev_f32_dpp v79, v176, v79 quad_perm:[3,3,3,3] row_mask:0xf bank_mask:0xf// 000000009600: 069E9EFA FF00FFB0
	v_subrev_f32_dpp v80, v176, v80 quad_perm:[0,0,0,0] row_mask:0xf bank_mask:0xf// 000000009608: 06A0A0FA FF0000B0
	v_subrev_f32_dpp v81, v176, v81 quad_perm:[1,1,1,1] row_mask:0xf bank_mask:0xf// 000000009610: 06A2A2FA FF0055B0
	v_mfma_f32_16x16x16_bf16 v[182:185], v[126:127], v[164:165], v[182:185]// 000000009618: D3E100B6 06DB497E
	v_subrev_f32_dpp v82, v176, v82 quad_perm:[2,2,2,2] row_mask:0xf bank_mask:0xf// 000000009620: 06A4A4FA FF00AAB0
	v_subrev_f32_dpp v83, v176, v83 quad_perm:[3,3,3,3] row_mask:0xf bank_mask:0xf// 000000009628: 06A6A6FA FF00FFB0
	v_subrev_f32_dpp v84, v176, v84 quad_perm:[0,0,0,0] row_mask:0xf bank_mask:0xf// 000000009630: 06A8A8FA FF0000B0
	v_subrev_f32_dpp v85, v176, v85 quad_perm:[1,1,1,1] row_mask:0xf bank_mask:0xf// 000000009638: 06AAAAFA FF0055B0
	v_subrev_f32_dpp v86, v176, v86 quad_perm:[2,2,2,2] row_mask:0xf bank_mask:0xf// 000000009640: 06ACACFA FF00AAB0
	v_subrev_f32_dpp v87, v176, v87 quad_perm:[3,3,3,3] row_mask:0xf bank_mask:0xf// 000000009648: 06AEAEFA FF00FFB0
	v_mfma_f32_16x16x16_bf16 v[186:189], v[128:129], v[164:165], v[186:189]// 000000009650: D3E100BA 06EB4980
	v_mul_f32_e32 v76, v52, v76                                // 000000009658: 0A989934
	v_mul_f32_e32 v77, v53, v77                                // 00000000965C: 0A9A9B35
	v_mul_f32_e32 v78, v54, v78                                // 000000009660: 0A9C9D36
	v_mul_f32_e32 v79, v55, v79                                // 000000009664: 0A9E9F37
	v_mul_f32_e32 v80, v56, v80                                // 000000009668: 0AA0A138
	v_mul_f32_e32 v81, v57, v81                                // 00000000966C: 0AA2A339
	v_mfma_f32_16x16x16_bf16 v[190:193], v[130:131], v[164:165], v[190:193]// 000000009670: D3E100BE 06FB4982
	v_mul_f32_e32 v82, v58, v82                                // 000000009678: 0AA4A53A
	v_mul_f32_e32 v83, v59, v83                                // 00000000967C: 0AA6A73B
	v_mul_f32_e32 v84, v60, v84                                // 000000009680: 0AA8A93C
	v_mul_f32_e32 v85, v61, v85                                // 000000009684: 0AAAAB3D
	v_mul_f32_e32 v86, v62, v86                                // 000000009688: 0AACAD3E
	v_mul_f32_e32 v87, v63, v87                                // 00000000968C: 0AAEAF3F
	v_mfma_f32_16x16x16_bf16 v[194:197], v[124:125], v[166:167], v[194:197]// 000000009690: D3E100C2 070B4D7C
	v_cmp_u_f32_e64 s[74:75], v76, v76                         // 000000009698: D048004A 0002994C
	v_bfe_u32 v226, v76, 16, 1                                 // 0000000096A0: D1C800E2 0205214C
	v_add3_u32 v226, v76, v226, v229                           // 0000000096A8: D1FF00E2 0797C54C
	v_cndmask_b32_e64 v32, v226, v228, s[74:75]                // 0000000096B0: D1000020 012BC9E2
	v_lshrrev_b32_e32 v32, 16, v32                             // 0000000096B8: 20404090
	v_cmp_u_f32_e64 s[74:75], v77, v77                         // 0000000096BC: D048004A 00029B4D
	v_bfe_u32 v226, v77, 16, 1                                 // 0000000096C4: D1C800E2 0205214D
	v_add3_u32 v226, v77, v226, v229                           // 0000000096CC: D1FF00E2 0797C54D
	v_cndmask_b32_e64 v33, v226, v228, s[74:75]                // 0000000096D4: D1000021 012BC9E2
	v_and_or_b32 v76, v33, v227, v32                           // 0000000096DC: D201004C 0483C721
	v_cmp_u_f32_e64 s[74:75], v78, v78                         // 0000000096E4: D048004A 00029D4E
	v_bfe_u32 v226, v78, 16, 1                                 // 0000000096EC: D1C800E2 0205214E
	v_add3_u32 v226, v78, v226, v229                           // 0000000096F4: D1FF00E2 0797C54E
	v_cndmask_b32_e64 v32, v226, v228, s[74:75]                // 0000000096FC: D1000020 012BC9E2
	v_lshrrev_b32_e32 v32, 16, v32                             // 000000009704: 20404090
	v_cmp_u_f32_e64 s[74:75], v79, v79                         // 000000009708: D048004A 00029F4F
	v_bfe_u32 v226, v79, 16, 1                                 // 000000009710: D1C800E2 0205214F
	v_add3_u32 v226, v79, v226, v229                           // 000000009718: D1FF00E2 0797C54F
	v_cndmask_b32_e64 v33, v226, v228, s[74:75]                // 000000009720: D1000021 012BC9E2
	v_and_or_b32 v77, v33, v227, v32                           // 000000009728: D201004D 0483C721
	v_cmp_u_f32_e64 s[74:75], v80, v80                         // 000000009730: D048004A 0002A150
	v_bfe_u32 v226, v80, 16, 1                                 // 000000009738: D1C800E2 02052150
	v_add3_u32 v226, v80, v226, v229                           // 000000009740: D1FF00E2 0797C550
	v_cndmask_b32_e64 v32, v226, v228, s[74:75]                // 000000009748: D1000020 012BC9E2
	v_lshrrev_b32_e32 v32, 16, v32                             // 000000009750: 20404090
	v_cmp_u_f32_e64 s[74:75], v81, v81                         // 000000009754: D048004A 0002A351
	v_bfe_u32 v226, v81, 16, 1                                 // 00000000975C: D1C800E2 02052151
	v_add3_u32 v226, v81, v226, v229                           // 000000009764: D1FF00E2 0797C551
	v_cndmask_b32_e64 v33, v226, v228, s[74:75]                // 00000000976C: D1000021 012BC9E2
	v_and_or_b32 v78, v33, v227, v32                           // 000000009774: D201004E 0483C721
	v_cmp_u_f32_e64 s[74:75], v82, v82                         // 00000000977C: D048004A 0002A552
	v_bfe_u32 v226, v82, 16, 1                                 // 000000009784: D1C800E2 02052152
	v_add3_u32 v226, v82, v226, v229                           // 00000000978C: D1FF00E2 0797C552
	v_cndmask_b32_e64 v32, v226, v228, s[74:75]                // 000000009794: D1000020 012BC9E2
	v_lshrrev_b32_e32 v32, 16, v32                             // 00000000979C: 20404090
	v_cmp_u_f32_e64 s[74:75], v83, v83                         // 0000000097A0: D048004A 0002A753
	v_bfe_u32 v226, v83, 16, 1                                 // 0000000097A8: D1C800E2 02052153
	v_add3_u32 v226, v83, v226, v229                           // 0000000097B0: D1FF00E2 0797C553
	v_cndmask_b32_e64 v33, v226, v228, s[74:75]                // 0000000097B8: D1000021 012BC9E2
	v_and_or_b32 v79, v33, v227, v32                           // 0000000097C0: D201004F 0483C721
	v_cmp_u_f32_e64 s[74:75], v84, v84                         // 0000000097C8: D048004A 0002A954
	v_bfe_u32 v226, v84, 16, 1                                 // 0000000097D0: D1C800E2 02052154
	v_add3_u32 v226, v84, v226, v229                           // 0000000097D8: D1FF00E2 0797C554
	v_cndmask_b32_e64 v32, v226, v228, s[74:75]                // 0000000097E0: D1000020 012BC9E2
	v_lshrrev_b32_e32 v32, 16, v32                             // 0000000097E8: 20404090
	v_cmp_u_f32_e64 s[74:75], v85, v85                         // 0000000097EC: D048004A 0002AB55
	v_bfe_u32 v226, v85, 16, 1                                 // 0000000097F4: D1C800E2 02052155
	v_add3_u32 v226, v85, v226, v229                           // 0000000097FC: D1FF00E2 0797C555
	v_cndmask_b32_e64 v33, v226, v228, s[74:75]                // 000000009804: D1000021 012BC9E2
	v_and_or_b32 v80, v33, v227, v32                           // 00000000980C: D2010050 0483C721
	v_cmp_u_f32_e64 s[74:75], v86, v86                         // 000000009814: D048004A 0002AD56
	v_bfe_u32 v226, v86, 16, 1                                 // 00000000981C: D1C800E2 02052156
	v_add3_u32 v226, v86, v226, v229                           // 000000009824: D1FF00E2 0797C556
	v_cndmask_b32_e64 v32, v226, v228, s[74:75]                // 00000000982C: D1000020 012BC9E2
	v_lshrrev_b32_e32 v32, 16, v32                             // 000000009834: 20404090
	v_cmp_u_f32_e64 s[74:75], v87, v87                         // 000000009838: D048004A 0002AF57
	v_bfe_u32 v226, v87, 16, 1                                 // 000000009840: D1C800E2 02052157
	v_add3_u32 v226, v87, v226, v229                           // 000000009848: D1FF00E2 0797C557
	v_cndmask_b32_e64 v33, v226, v228, s[74:75]                // 000000009850: D1000021 012BC9E2
	v_and_or_b32 v81, v33, v227, v32                           // 000000009858: D2010051 0483C721
	v_mfma_f32_16x16x16_bf16 v[198:201], v[126:127], v[166:167], v[198:201]// 000000009860: D3E100C6 071B4D7E
	v_mov_b32_dpp v22, v76 quad_perm:[1,0,3,2] row_mask:0xf bank_mask:0xf// 000000009868: 7E2C02FA FF00B14C
	v_perm_b32 v52, v22, v76, v21                              // 000000009870: D1ED0034 04569916
	v_mov_b32_dpp v22, v77 quad_perm:[1,0,3,2] row_mask:0xf bank_mask:0xf// 000000009878: 7E2C02FA FF00B14D
	v_perm_b32 v53, v22, v77, v21                              // 000000009880: D1ED0035 04569B16
	v_mov_b32_dpp v22, v78 quad_perm:[1,0,3,2] row_mask:0xf bank_mask:0xf// 000000009888: 7E2C02FA FF00B14E
	v_perm_b32 v54, v22, v78, v21                              // 000000009890: D1ED0036 04569D16
	v_mfma_f32_16x16x16_bf16 v[202:205], v[128:129], v[166:167], v[202:205]// 000000009898: D3E100CA 072B4D80
	ds_write_b32 v24, v52 offset:17408                         // 0000000098A0: D81A4400 00003418
	ds_write_b32 v24, v53 offset:17952                         // 0000000098A8: D81A4620 00003518
	v_mfma_f32_16x16x16_bf16 v[206:209], v[130:131], v[166:167], v[206:209]// 0000000098B0: D3E100CE 073B4D82
	v_mov_b32_dpp v22, v79 quad_perm:[1,0,3,2] row_mask:0xf bank_mask:0xf// 0000000098B8: 7E2C02FA FF00B14F
	v_perm_b32 v55, v22, v79, v21                              // 0000000098C0: D1ED0037 04569F16
	v_mov_b32_dpp v22, v80 quad_perm:[1,0,3,2] row_mask:0xf bank_mask:0xf// 0000000098C8: 7E2C02FA FF00B150
	v_perm_b32 v56, v22, v80, v21                              // 0000000098D0: D1ED0038 0456A116
	v_mov_b32_dpp v22, v81 quad_perm:[1,0,3,2] row_mask:0xf bank_mask:0xf// 0000000098D8: 7E2C02FA FF00B151
	v_perm_b32 v57, v22, v81, v21                              // 0000000098E0: D1ED0039 0456A316
	v_mfma_f32_16x16x16_bf16 v[210:213], v[124:125], v[168:169], v[210:213]// 0000000098E8: D3E100D2 074B517C
	ds_write_b32 v24, v54 offset:19712                         // 0000000098F0: D81A4D00 00003618
	ds_write_b32 v24, v55 offset:20256                         // 0000000098F8: D81A4F20 00003718
	v_mfma_f32_16x16x16_bf16 v[214:217], v[126:127], v[168:169], v[214:217]// 000000009900: D3E100D6 075B517E
	v_subrev_f32_dpp v88, v177, v88 quad_perm:[0,0,0,0] row_mask:0xf bank_mask:0xf// 000000009908: 06B0B0FA FF0000B1
	v_subrev_f32_dpp v89, v177, v89 quad_perm:[1,1,1,1] row_mask:0xf bank_mask:0xf// 000000009910: 06B2B2FA FF0055B1
	v_subrev_f32_dpp v90, v177, v90 quad_perm:[2,2,2,2] row_mask:0xf bank_mask:0xf// 000000009918: 06B4B4FA FF00AAB1
	v_subrev_f32_dpp v91, v177, v91 quad_perm:[3,3,3,3] row_mask:0xf bank_mask:0xf// 000000009920: 06B6B6FA FF00FFB1
	v_subrev_f32_dpp v92, v177, v92 quad_perm:[0,0,0,0] row_mask:0xf bank_mask:0xf// 000000009928: 06B8B8FA FF0000B1
	v_subrev_f32_dpp v93, v177, v93 quad_perm:[1,1,1,1] row_mask:0xf bank_mask:0xf// 000000009930: 06BABAFA FF0055B1
	v_mfma_f32_16x16x16_bf16 v[218:221], v[128:129], v[168:169], v[218:221]// 000000009938: D3E100DA 076B5180
	ds_write_b32 v24, v56 offset:22016                         // 000000009940: D81A5600 00003818
	ds_write_b32 v24, v57 offset:22560                         // 000000009948: D81A5820 00003918
	v_mfma_f32_16x16x16_bf16 v[222:225], v[130:131], v[168:169], v[222:225]// 000000009950: D3E100DE 077B5182
	v_subrev_f32_dpp v94, v177, v94 quad_perm:[2,2,2,2] row_mask:0xf bank_mask:0xf// 000000009958: 06BCBCFA FF00AAB1
	v_subrev_f32_dpp v95, v177, v95 quad_perm:[3,3,3,3] row_mask:0xf bank_mask:0xf// 000000009960: 06BEBEFA FF00FFB1
	v_subrev_f32_dpp v96, v177, v96 quad_perm:[0,0,0,0] row_mask:0xf bank_mask:0xf// 000000009968: 06C0C0FA FF0000B1
	v_subrev_f32_dpp v97, v177, v97 quad_perm:[1,1,1,1] row_mask:0xf bank_mask:0xf// 000000009970: 06C2C2FA FF0055B1
	v_subrev_f32_dpp v98, v177, v98 quad_perm:[2,2,2,2] row_mask:0xf bank_mask:0xf// 000000009978: 06C4C4FA FF00AAB1
	v_subrev_f32_dpp v99, v177, v99 quad_perm:[3,3,3,3] row_mask:0xf bank_mask:0xf// 000000009980: 06C6C6FA FF00FFB1
	v_mfma_f32_16x16x16_bf16 v[178:181], v[132:133], v[170:171], v[178:181]// 000000009988: D3E100B2 06CB5584
	v_mul_f32_e32 v88, v64, v88                                // 000000009990: 0AB0B140
	v_mul_f32_e32 v89, v65, v89                                // 000000009994: 0AB2B341
	v_mul_f32_e32 v90, v66, v90                                // 000000009998: 0AB4B542
	v_mul_f32_e32 v91, v67, v91                                // 00000000999C: 0AB6B743
	v_mul_f32_e32 v92, v68, v92                                // 0000000099A0: 0AB8B944
	v_mul_f32_e32 v93, v69, v93                                // 0000000099A4: 0ABABB45
	v_mfma_f32_16x16x16_bf16 v[182:185], v[134:135], v[170:171], v[182:185]// 0000000099A8: D3E100B6 06DB5586
	v_mul_f32_e32 v94, v70, v94                                // 0000000099B0: 0ABCBD46
	v_mul_f32_e32 v95, v71, v95                                // 0000000099B4: 0ABEBF47
	v_mul_f32_e32 v96, v72, v96                                // 0000000099B8: 0AC0C148
	v_mul_f32_e32 v97, v73, v97                                // 0000000099BC: 0AC2C349
	v_mul_f32_e32 v98, v74, v98                                // 0000000099C0: 0AC4C54A
	v_mul_f32_e32 v99, v75, v99                                // 0000000099C4: 0AC6C74B
	v_mfma_f32_16x16x16_bf16 v[186:189], v[136:137], v[170:171], v[186:189]// 0000000099C8: D3E100BA 06EB5588
	v_cmp_u_f32_e64 s[74:75], v88, v88                         // 0000000099D0: D048004A 0002B158
	v_bfe_u32 v226, v88, 16, 1                                 // 0000000099D8: D1C800E2 02052158
	v_add3_u32 v226, v88, v226, v229                           // 0000000099E0: D1FF00E2 0797C558
	v_cndmask_b32_e64 v32, v226, v228, s[74:75]                // 0000000099E8: D1000020 012BC9E2
	v_lshrrev_b32_e32 v32, 16, v32                             // 0000000099F0: 20404090
	v_cmp_u_f32_e64 s[74:75], v89, v89                         // 0000000099F4: D048004A 0002B359
	v_bfe_u32 v226, v89, 16, 1                                 // 0000000099FC: D1C800E2 02052159
	v_add3_u32 v226, v89, v226, v229                           // 000000009A04: D1FF00E2 0797C559
	v_cndmask_b32_e64 v33, v226, v228, s[74:75]                // 000000009A0C: D1000021 012BC9E2
	v_and_or_b32 v82, v33, v227, v32                           // 000000009A14: D2010052 0483C721
	v_cmp_u_f32_e64 s[74:75], v90, v90                         // 000000009A1C: D048004A 0002B55A
	v_bfe_u32 v226, v90, 16, 1                                 // 000000009A24: D1C800E2 0205215A
	v_add3_u32 v226, v90, v226, v229                           // 000000009A2C: D1FF00E2 0797C55A
	v_cndmask_b32_e64 v32, v226, v228, s[74:75]                // 000000009A34: D1000020 012BC9E2
	v_lshrrev_b32_e32 v32, 16, v32                             // 000000009A3C: 20404090
	v_cmp_u_f32_e64 s[74:75], v91, v91                         // 000000009A40: D048004A 0002B75B
	v_bfe_u32 v226, v91, 16, 1                                 // 000000009A48: D1C800E2 0205215B
	v_add3_u32 v226, v91, v226, v229                           // 000000009A50: D1FF00E2 0797C55B
	v_cndmask_b32_e64 v33, v226, v228, s[74:75]                // 000000009A58: D1000021 012BC9E2
	v_and_or_b32 v83, v33, v227, v32                           // 000000009A60: D2010053 0483C721
	v_cmp_u_f32_e64 s[74:75], v92, v92                         // 000000009A68: D048004A 0002B95C
	v_bfe_u32 v226, v92, 16, 1                                 // 000000009A70: D1C800E2 0205215C
	v_add3_u32 v226, v92, v226, v229                           // 000000009A78: D1FF00E2 0797C55C
	v_cndmask_b32_e64 v32, v226, v228, s[74:75]                // 000000009A80: D1000020 012BC9E2
	v_lshrrev_b32_e32 v32, 16, v32                             // 000000009A88: 20404090
	v_cmp_u_f32_e64 s[74:75], v93, v93                         // 000000009A8C: D048004A 0002BB5D
	v_bfe_u32 v226, v93, 16, 1                                 // 000000009A94: D1C800E2 0205215D
	v_add3_u32 v226, v93, v226, v229                           // 000000009A9C: D1FF00E2 0797C55D
	v_cndmask_b32_e64 v33, v226, v228, s[74:75]                // 000000009AA4: D1000021 012BC9E2
	v_and_or_b32 v84, v33, v227, v32                           // 000000009AAC: D2010054 0483C721
	v_cmp_u_f32_e64 s[74:75], v94, v94                         // 000000009AB4: D048004A 0002BD5E
	v_bfe_u32 v226, v94, 16, 1                                 // 000000009ABC: D1C800E2 0205215E
	v_add3_u32 v226, v94, v226, v229                           // 000000009AC4: D1FF00E2 0797C55E
	v_cndmask_b32_e64 v32, v226, v228, s[74:75]                // 000000009ACC: D1000020 012BC9E2
	v_lshrrev_b32_e32 v32, 16, v32                             // 000000009AD4: 20404090
	v_cmp_u_f32_e64 s[74:75], v95, v95                         // 000000009AD8: D048004A 0002BF5F
	v_bfe_u32 v226, v95, 16, 1                                 // 000000009AE0: D1C800E2 0205215F
	v_add3_u32 v226, v95, v226, v229                           // 000000009AE8: D1FF00E2 0797C55F
	v_cndmask_b32_e64 v33, v226, v228, s[74:75]                // 000000009AF0: D1000021 012BC9E2
	v_and_or_b32 v85, v33, v227, v32                           // 000000009AF8: D2010055 0483C721
	v_cmp_u_f32_e64 s[74:75], v96, v96                         // 000000009B00: D048004A 0002C160
	v_bfe_u32 v226, v96, 16, 1                                 // 000000009B08: D1C800E2 02052160
	v_add3_u32 v226, v96, v226, v229                           // 000000009B10: D1FF00E2 0797C560
	v_cndmask_b32_e64 v32, v226, v228, s[74:75]                // 000000009B18: D1000020 012BC9E2
	v_lshrrev_b32_e32 v32, 16, v32                             // 000000009B20: 20404090
	v_cmp_u_f32_e64 s[74:75], v97, v97                         // 000000009B24: D048004A 0002C361
	v_bfe_u32 v226, v97, 16, 1                                 // 000000009B2C: D1C800E2 02052161
	v_add3_u32 v226, v97, v226, v229                           // 000000009B34: D1FF00E2 0797C561
	v_cndmask_b32_e64 v33, v226, v228, s[74:75]                // 000000009B3C: D1000021 012BC9E2
	v_and_or_b32 v86, v33, v227, v32                           // 000000009B44: D2010056 0483C721
	v_cmp_u_f32_e64 s[74:75], v98, v98                         // 000000009B4C: D048004A 0002C562
	v_bfe_u32 v226, v98, 16, 1                                 // 000000009B54: D1C800E2 02052162
	v_add3_u32 v226, v98, v226, v229                           // 000000009B5C: D1FF00E2 0797C562
	v_cndmask_b32_e64 v32, v226, v228, s[74:75]                // 000000009B64: D1000020 012BC9E2
	v_lshrrev_b32_e32 v32, 16, v32                             // 000000009B6C: 20404090
	v_cmp_u_f32_e64 s[74:75], v99, v99                         // 000000009B70: D048004A 0002C763
	v_bfe_u32 v226, v99, 16, 1                                 // 000000009B78: D1C800E2 02052163
	v_add3_u32 v226, v99, v226, v229                           // 000000009B80: D1FF00E2 0797C563
	v_cndmask_b32_e64 v33, v226, v228, s[74:75]                // 000000009B88: D1000021 012BC9E2
	v_and_or_b32 v87, v33, v227, v32                           // 000000009B90: D2010057 0483C721
	v_mfma_f32_16x16x16_bf16 v[190:193], v[138:139], v[170:171], v[190:193]// 000000009B98: D3E100BE 06FB558A
	v_mov_b32_dpp v22, v82 quad_perm:[1,0,3,2] row_mask:0xf bank_mask:0xf// 000000009BA0: 7E2C02FA FF00B152
	v_perm_b32 v58, v22, v82, v21                              // 000000009BA8: D1ED003A 0456A516
	v_mov_b32_dpp v22, v83 quad_perm:[1,0,3,2] row_mask:0xf bank_mask:0xf// 000000009BB0: 7E2C02FA FF00B153
	v_perm_b32 v59, v22, v83, v21                              // 000000009BB8: D1ED003B 0456A716
	v_mov_b32_dpp v22, v84 quad_perm:[1,0,3,2] row_mask:0xf bank_mask:0xf// 000000009BC0: 7E2C02FA FF00B154
	v_perm_b32 v60, v22, v84, v21                              // 000000009BC8: D1ED003C 0456A916
	v_mfma_f32_16x16x16_bf16 v[194:197], v[132:133], v[172:173], v[194:197]// 000000009BD0: D3E100C2 070B5984
	ds_write_b32 v24, v58 offset:24320                         // 000000009BD8: D81A5F00 00003A18
	ds_write_b32 v24, v59 offset:24864                         // 000000009BE0: D81A6120 00003B18
	v_mfma_f32_16x16x16_bf16 v[198:201], v[134:135], v[172:173], v[198:201]// 000000009BE8: D3E100C6 071B5986
	v_mov_b32_dpp v22, v85 quad_perm:[1,0,3,2] row_mask:0xf bank_mask:0xf// 000000009BF0: 7E2C02FA FF00B155
	v_perm_b32 v61, v22, v85, v21                              // 000000009BF8: D1ED003D 0456AB16
	v_mov_b32_dpp v22, v86 quad_perm:[1,0,3,2] row_mask:0xf bank_mask:0xf// 000000009C00: 7E2C02FA FF00B156
	v_perm_b32 v62, v22, v86, v21                              // 000000009C08: D1ED003E 0456AD16
	v_mov_b32_dpp v22, v87 quad_perm:[1,0,3,2] row_mask:0xf bank_mask:0xf// 000000009C10: 7E2C02FA FF00B157
	v_perm_b32 v63, v22, v87, v21                              // 000000009C18: D1ED003F 0456AF16
	v_mfma_f32_16x16x16_bf16 v[202:205], v[136:137], v[172:173], v[202:205]// 000000009C20: D3E100CA 072B5988
	ds_write_b32 v24, v60 offset:26624                         // 000000009C28: D81A6800 00003C18
	ds_write_b32 v24, v61 offset:27168                         // 000000009C30: D81A6A20 00003D18
	ds_write_b32 v24, v62 offset:28928                         // 000000009C38: D81A7100 00003E18
	ds_write_b32 v24, v63 offset:29472                         // 000000009C40: D81A7320 00003F18
	v_mfma_f32_16x16x16_bf16 v[206:209], v[138:139], v[172:173], v[206:209]// 000000009C48: D3E100CE 073B598A
	v_mfma_f32_16x16x16_bf16 v[210:213], v[132:133], v[174:175], v[210:213]// 000000009C50: D3E100D2 074B5D84
	ds_write_b32 v19, v100 offset:4352                         // 000000009C58: D81A1100 00006413
	ds_write_b32 v19, v101 offset:5408                         // 000000009C60: D81A1520 00006513
	v_mfma_f32_16x16x16_bf16 v[214:217], v[134:135], v[174:175], v[214:217]// 000000009C68: D3E100D6 075B5D86
	v_mfma_f32_16x16x16_bf16 v[218:221], v[136:137], v[174:175], v[218:221]// 000000009C70: D3E100DA 076B5D88
	ds_write_b32 v19, v102 offset:6528                         // 000000009C78: D81A1980 00006613
	ds_write_b32 v19, v103 offset:7584                         // 000000009C80: D81A1DA0 00006713
	v_mfma_f32_16x16x16_bf16 v[222:225], v[138:139], v[174:175], v[222:225]// 000000009C88: D3E100DE 077B5D8A
	s_nop 0                                                    // 000000009C90: BF800000
	s_nop 0                                                    // 000000009C94: BF800000
	s_nop 0                                                    // 000000009C98: BF800000
	s_barrier                                                  // 000000009C9C: BF8A0000
	v_mfma_f32_16x16x16_bf16 a[112:115], a[96:97], v[76:77], a[112:115]// 000000009CA0: D3E18070 0DC29960
	ds_read_b32 v140, v27 offset:35584                         // 000000009CA8: D86C8B00 8C00001B
	ds_read_b32 v144, v27 offset:35648                         // 000000009CB0: D86C8B40 9000001B
	ds_read_b32 v176, v27 offset:35840                         // 000000009CB8: D86C8C00 B000001B
	ds_read_b32 v177, v27 offset:35904                         // 000000009CC0: D86C8C40 B100001B
	v_mfma_f32_16x16x16_bf16 a[116:119], a[98:99], v[76:77], a[116:119]// 000000009CC8: D3E18074 0DD29962
	global_atomic_pk_add_bf16 v6, v156, s[32:33]               // 000000009CD0: DD488000 00209C06
	v_mfma_f32_16x16x16_bf16 a[120:123], a[100:101], v[76:77], a[120:123]// 000000009CD8: D3E18078 0DE29964
	s_waitcnt lgkmcnt(8)                                       // 000000009CE0: BF8CC87F
	s_barrier                                                  // 000000009CE4: BF8A0000
	v_mfma_f32_16x16x16_bf16 a[124:127], a[102:103], v[76:77], a[124:127]// 000000009CE8: D3E1807C 0DF29966
	v_mfma_f32_16x16x16_bf16 a[128:131], a[96:97], v[78:79], a[128:131]// 000000009CF0: D3E18080 0E029D60
	ds_read_b128 v[52:55], v23 offset:17408                    // 000000009CF8: D9FE4400 34000017
	v_mfma_f32_16x16x16_bf16 a[132:135], a[98:99], v[78:79], a[132:135]// 000000009D00: D3E18084 0E129D62
	v_mfma_f32_16x16x16_bf16 a[136:139], a[100:101], v[78:79], a[136:139]// 000000009D08: D3E18088 0E229D64
	ds_read_b128 v[56:59], v23 offset:18560                    // 000000009D10: D9FE4880 38000017
	v_mfma_f32_16x16x16_bf16 a[140:143], a[102:103], v[78:79], a[140:143]// 000000009D18: D3E1808C 0E329D66
	global_atomic_pk_add_bf16 v8, v157, s[32:33]               // 000000009D20: DD488000 00209D08
	v_mfma_f32_16x16x16_bf16 a[144:147], a[96:97], v[80:81], a[144:147]// 000000009D28: D3E18090 0E42A160
	ds_read_b128 v[60:63], v23 offset:19712                    // 000000009D30: D9FE4D00 3C000017
	v_mfma_f32_16x16x16_bf16 a[148:151], a[98:99], v[80:81], a[148:151]// 000000009D38: D3E18094 0E52A162
	v_mfma_f32_16x16x16_bf16 a[152:155], a[100:101], v[80:81], a[152:155]// 000000009D40: D3E18098 0E62A164
	ds_read_b128 v[64:67], v23 offset:20864                    // 000000009D48: D9FE5180 40000017
	v_mfma_f32_16x16x16_bf16 a[156:159], a[102:103], v[80:81], a[156:159]// 000000009D50: D3E1809C 0E72A166
	v_mfma_f32_16x16x16_bf16 a[112:115], a[104:105], v[82:83], a[112:115]// 000000009D58: D3E18070 0DC2A568
	ds_read_b128 v[68:71], v23 offset:22016                    // 000000009D60: D9FE5600 44000017
	v_mfma_f32_16x16x16_bf16 a[116:119], a[106:107], v[82:83], a[116:119]// 000000009D68: D3E18074 0DD2A56A
	global_atomic_pk_add_bf16 v10, v158, s[32:33]              // 000000009D70: DD488000 00209E0A
	v_mfma_f32_16x16x16_bf16 a[120:123], a[108:109], v[82:83], a[120:123]// 000000009D78: D3E18078 0DE2A56C
	ds_read_b128 v[72:75], v23 offset:23168                    // 000000009D80: D9FE5A80 48000017
	v_mfma_f32_16x16x16_bf16 a[124:127], a[110:111], v[82:83], a[124:127]// 000000009D88: D3E1807C 0DF2A56E
	v_mfma_f32_16x16x16_bf16 a[128:131], a[104:105], v[84:85], a[128:131]// 000000009D90: D3E18080 0E02A968
	ds_write_b32 v19, v104 offset:13056                        // 000000009D98: D81A3300 00006813
	v_mfma_f32_16x16x16_bf16 a[132:135], a[106:107], v[84:85], a[132:135]// 000000009DA0: D3E18084 0E12A96A
	v_mfma_f32_16x16x16_bf16 a[136:139], a[108:109], v[84:85], a[136:139]// 000000009DA8: D3E18088 0E22A96C
	ds_write_b32 v19, v105 offset:14112                        // 000000009DB0: D81A3720 00006913
	v_mfma_f32_16x16x16_bf16 a[140:143], a[110:111], v[84:85], a[140:143]// 000000009DB8: D3E1808C 0E32A96E
	global_atomic_pk_add_bf16 v12, v159, s[32:33]              // 000000009DC0: DD488000 00209F0C
	v_mfma_f32_16x16x16_bf16 a[144:147], a[104:105], v[86:87], a[144:147]// 000000009DC8: D3E18090 0E42AD68
	ds_write_b32 v19, v106 offset:15232                        // 000000009DD0: D81A3B80 00006A13
	v_mfma_f32_16x16x16_bf16 a[148:151], a[106:107], v[86:87], a[148:151]// 000000009DD8: D3E18094 0E52AD6A
	v_mfma_f32_16x16x16_bf16 a[152:155], a[108:109], v[86:87], a[152:155]// 000000009DE0: D3E18098 0E62AD6C
	ds_write_b32 v19, v107 offset:16288                        // 000000009DE8: D81A3FA0 00006B13
	v_mfma_f32_16x16x16_bf16 a[156:159], a[110:111], v[86:87], a[156:159]// 000000009DF0: D3E1809C 0E72AD6E
	s_waitcnt vmcnt(4) lgkmcnt(4)                              // 000000009DF8: BF8C0474
	s_barrier                                                  // 000000009DFC: BF8A0000
	v_mfma_f32_16x16x16_bf16 v[148:151], a[24:25], v[52:53], 0 // 000000009E00: D3E10094 0A026918
	ds_read_b128 a[96:99], v16                                 // 000000009E08: DBFE0000 60000010
	buffer_load_dword v36, v1, s[8:11], 0 idxen                // 000000009E10: E0502000 80022401
	v_mfma_f32_16x16x16_bf16 v[148:151], a[28:29], v[54:55], v[148:151]// 000000009E18: D3E10094 0E526D1C
	v_mul_f32_e32 v140, s49, v140                              // 000000009E20: 0B191831
	v_mul_f32_e32 v144, s49, v144                              // 000000009E24: 0B212031
	s_nop 0                                                    // 000000009E28: BF800000
	v_mfma_f32_16x16x16_bf16 v[148:151], a[32:33], v[56:57], v[148:151]// 000000009E2C: D3E10094 0E527120
	ds_read_b128 a[100:103], v16 offset:512                    // 000000009E34: DBFE0200 64000010
	buffer_load_dword v37, v2, s[8:11], 0 idxen                // 000000009E3C: E0502000 80022502
	v_mfma_f32_16x16x16_bf16 v[148:151], a[36:37], v[58:59], v[148:151]// 000000009E44: D3E10094 0E527524
	v_mfma_f32_16x16x16_bf16 v[148:151], a[40:41], v[60:61], v[148:151]// 000000009E4C: D3E10094 0E527928
	ds_read_b128 a[104:107], v16 offset:2176                   // 000000009E54: DBFE0880 68000010
	buffer_load_dword v38, v3, s[8:11], 0 idxen                // 000000009E5C: E0502000 80022603
	v_mfma_f32_16x16x16_bf16 v[148:151], a[44:45], v[62:63], v[148:151]// 000000009E64: D3E10094 0E527D2C
	v_perm_b32 v100, v41, v40, s63                             // 000000009E6C: D1ED0064 00FE5129
	v_perm_b32 v101, v41, v40, s64                             // 000000009E74: D1ED0065 01025129
	v_mfma_f32_16x16x16_bf16 v[148:151], a[48:49], v[64:65], v[148:151]// 000000009E7C: D3E10094 0E528130
	ds_read_b128 a[108:111], v16 offset:2688                   // 000000009E84: DBFE0A80 6C000010
	buffer_load_dword v39, v4, s[8:11], 0 idxen                // 000000009E8C: E0502000 80022704
	v_mfma_f32_16x16x16_bf16 v[148:151], a[52:53], v[66:67], v[148:151]// 000000009E94: D3E10094 0E528534
	v_perm_b32 v102, v43, v42, s63                             // 000000009E9C: D1ED0066 00FE552B
	v_perm_b32 v103, v43, v42, s64                             // 000000009EA4: D1ED0067 0102552B
	v_mfma_f32_16x16x16_bf16 v[148:151], a[56:57], v[68:69], v[148:151]// 000000009EAC: D3E10094 0E528938
	ds_read_b128 v[108:111], v16 offset:8704                   // 000000009EB4: D9FE2200 6C000010
	buffer_load_dword v44, v1, s[20:23], 0 idxen               // 000000009EBC: E0502000 80052C01
	v_mfma_f32_16x16x16_bf16 v[148:151], a[60:61], v[70:71], v[148:151]// 000000009EC4: D3E10094 0E528D3C
	v_perm_b32 v104, v49, v48, s63                             // 000000009ECC: D1ED0068 00FE6131
	v_perm_b32 v105, v49, v48, s64                             // 000000009ED4: D1ED0069 01026131
	v_mfma_f32_16x16x16_bf16 v[148:151], a[64:65], v[72:73], v[148:151]// 000000009EDC: D3E10094 0E529140
	ds_read_b128 v[112:115], v16 offset:9216                   // 000000009EE4: D9FE2400 70000010
	buffer_load_dword v45, v2, s[20:23], 0 idxen               // 000000009EEC: E0502000 80052D02
	v_mfma_f32_16x16x16_bf16 v[148:151], a[68:69], v[74:75], v[148:151]// 000000009EF4: D3E10094 0E529544
	v_perm_b32 v106, v51, v50, s63                             // 000000009EFC: D1ED006A 00FE6533
	v_perm_b32 v107, v51, v50, s64                             // 000000009F04: D1ED006B 01026533
	v_mfma_f32_16x16x16_bf16 v[152:155], a[26:27], v[52:53], 0 // 000000009F0C: D3E10098 0A02691A
	ds_read_b128 v[116:119], v16 offset:10880                  // 000000009F14: D9FE2A80 74000010
	buffer_load_dword v46, v3, s[20:23], 0 idxen               // 000000009F1C: E0502000 80052E03
	v_mfma_f32_16x16x16_bf16 v[152:155], a[30:31], v[54:55], v[152:155]// 000000009F24: D3E10098 0E626D1E
	v_mov_b32_dpp v143, v140 quad_perm:[3,3,3,3] row_mask:0xf bank_mask:0xf// 000000009F2C: 7F1E02FA FF00FF8C
	v_mov_b32_dpp v142, v140 quad_perm:[2,2,2,2] row_mask:0xf bank_mask:0xf// 000000009F34: 7F1C02FA FF00AA8C
	v_mov_b32_dpp v141, v140 quad_perm:[1,1,1,1] row_mask:0xf bank_mask:0xf// 000000009F3C: 7F1A02FA FF00558C
	v_mov_b32_dpp v140, v140 quad_perm:[0,0,0,0] row_mask:0xf bank_mask:0xf// 000000009F44: 7F1802FA FF00008C
	v_mfma_f32_16x16x16_bf16 v[152:155], a[34:35], v[56:57], v[152:155]// 000000009F4C: D3E10098 0E627122
	ds_read_b128 v[120:123], v16 offset:11392                  // 000000009F54: D9FE2C80 78000010
	buffer_load_dword v47, v4, s[20:23], 0 idxen               // 000000009F5C: E0502000 80052F04
	v_mfma_f32_16x16x16_bf16 v[152:155], a[38:39], v[58:59], v[152:155]// 000000009F64: D3E10098 0E627526
	v_mov_b32_dpp v147, v144 quad_perm:[3,3,3,3] row_mask:0xf bank_mask:0xf// 000000009F6C: 7F2602FA FF00FF90
	v_mov_b32_dpp v146, v144 quad_perm:[2,2,2,2] row_mask:0xf bank_mask:0xf// 000000009F74: 7F2402FA FF00AA90
	v_mov_b32_dpp v145, v144 quad_perm:[1,1,1,1] row_mask:0xf bank_mask:0xf// 000000009F7C: 7F2202FA FF005590
	v_mov_b32_dpp v144, v144 quad_perm:[0,0,0,0] row_mask:0xf bank_mask:0xf// 000000009F84: 7F2002FA FF000090
	s_add_u32 s60, 0x80, s59                                   // 000000009F8C: 803C3BFF 00000080
	v_mfma_f32_16x16x16_bf16 v[152:155], a[42:43], v[60:61], v[152:155]// 000000009F94: D3E10098 0E62792A
	buffer_load_dword v15, s[24:27], 0 idxen lds               // 000000009F9C: E0512000 8006000F
	v_mfma_f32_16x16x16_bf16 v[152:155], a[46:47], v[62:63], v[152:155]// 000000009FA4: D3E10098 0E627D2E
	s_cmp_lt_u32 s60, s58                                      // 000000009FAC: BF0A3A3C
	s_cselect_b32 s68, s68, 0                                  // 000000009FB0: 85448044
	s_cselect_b32 s69, s69, 0                                  // 000000009FB4: 85458045
	v_mfma_f32_16x16x16_bf16 v[152:155], a[50:51], v[64:65], v[152:155]// 000000009FB8: D3E10098 0E628132
	s_add_u32 s8, s68, s8                                      // 000000009FC0: 80080844
	s_addc_u32 s9, 0, s9                                       // 000000009FC4: 82090980
	v_mfma_f32_16x16x16_bf16 v[152:155], a[54:55], v[66:67], v[152:155]// 000000009FC8: D3E10098 0E628536
	s_add_u32 s20, s68, s20                                    // 000000009FD0: 80141444
	s_addc_u32 s21, 0, s21                                     // 000000009FD4: 82151580
	v_mfma_f32_16x16x16_bf16 v[152:155], a[58:59], v[68:69], v[152:155]// 000000009FD8: D3E10098 0E62893A
	s_mov_b32 m0, s77                                          // 000000009FE0: BEFC004D
	v_add_u32_e32 v15, s69, v15                                // 000000009FE4: 681E1E45
	v_mfma_f32_16x16x16_bf16 v[152:155], a[62:63], v[70:71], v[152:155]// 000000009FE8: D3E10098 0E628D3E
	s_cmp_ge_u32 s59, 32                                       // 000000009FF0: BF09A03B
	s_cselect_b32 s66, s67, s66                                // 000000009FF4: 85424243
	v_mfma_f32_16x16x16_bf16 v[152:155], a[66:67], v[72:73], v[152:155]// 000000009FF8: D3E10098 0E629142
	s_addk_i32 s59, 0x20                                       // 00000000A000: B73B0020
	s_nop 0                                                    // 00000000A004: BF800000
	s_cmp_lt_i32 s59, s58                                      // 00000000A008: BF043A3B
	v_mfma_f32_16x16x16_bf16 v[152:155], a[70:71], v[74:75], v[152:155]// 00000000A00C: D3E10098 0E629546
	s_cbranch_scc0 label_0F0D                                  // 00000000A014: BF84F687
	s_branch label_0F10                                        // 00000000A018: BF82F689

000000000000a01c <label_1887>:
	s_add_u32 s32, s66, s32                                    // 00000000A01C: 80202042
	s_addc_u32 s33, 0, s33                                     // 00000000A020: 82212180
	v_lshrrev_b32_e32 v32, 5, v0                               // 00000000A024: 20400085
	v_mul_i32_i24_e32 v31, 0x44, v32                           // 00000000A028: 0C3E40FF 00000044
	v_and_b32_e32 v32, 31, v0                                  // 00000000A030: 2640009F
	v_mul_i32_i24_e32 v33, 2, v32                              // 00000000A034: 0C424082
	v_add_u32_e32 v31, v33, v31                                // 00000000A038: 683E3F21
	s_mul_i32 s60, s47, 0x220                                  // 00000000A03C: 923CFF2F 00000220
	v_add_u32_e32 v31, s60, v31                                // 00000000A044: 683E3E3C
	v_lshlrev_b32_e32 v31, 2, v31                              // 00000000A048: 243E3E82
	v_mul_f32_e32 v148, s48, v148                              // 00000000A04C: 0B292830
	v_mul_f32_e32 v149, s48, v149                              // 00000000A050: 0B2B2A30
	v_mul_f32_e32 v150, s48, v150                              // 00000000A054: 0B2D2C30
	v_mul_f32_e32 v151, s48, v151                              // 00000000A058: 0B2F2E30
	v_mul_f32_e32 v152, s48, v152                              // 00000000A05C: 0B313030
	v_mul_f32_e32 v153, s48, v153                              // 00000000A060: 0B333230
	v_mul_f32_e32 v154, s48, v154                              // 00000000A064: 0B353430
	v_mul_f32_e32 v155, s48, v155                              // 00000000A068: 0B373630
	v_cmp_u_f32_e64 s[74:75], v148, v148                       // 00000000A06C: D048004A 00032994
	v_bfe_u32 v226, v148, 16, 1                                // 00000000A074: D1C800E2 02052194
	v_add3_u32 v226, v148, v226, v229                          // 00000000A07C: D1FF00E2 0797C594
	v_cndmask_b32_e64 v32, v226, v228, s[74:75]                // 00000000A084: D1000020 012BC9E2
	v_lshrrev_b32_e32 v32, 16, v32                             // 00000000A08C: 20404090
	v_cmp_u_f32_e64 s[74:75], v149, v149                       // 00000000A090: D048004A 00032B95
	v_bfe_u32 v226, v149, 16, 1                                // 00000000A098: D1C800E2 02052195
	v_add3_u32 v226, v149, v226, v229                          // 00000000A0A0: D1FF00E2 0797C595
	v_cndmask_b32_e64 v33, v226, v228, s[74:75]                // 00000000A0A8: D1000021 012BC9E2
	v_and_or_b32 v148, v33, v227, v32                          // 00000000A0B0: D2010094 0483C721
	v_cmp_u_f32_e64 s[74:75], v150, v150                       // 00000000A0B8: D048004A 00032D96
	v_bfe_u32 v226, v150, 16, 1                                // 00000000A0C0: D1C800E2 02052196
	v_add3_u32 v226, v150, v226, v229                          // 00000000A0C8: D1FF00E2 0797C596
	v_cndmask_b32_e64 v32, v226, v228, s[74:75]                // 00000000A0D0: D1000020 012BC9E2
	v_lshrrev_b32_e32 v32, 16, v32                             // 00000000A0D8: 20404090
	v_cmp_u_f32_e64 s[74:75], v151, v151                       // 00000000A0DC: D048004A 00032F97
	v_bfe_u32 v226, v151, 16, 1                                // 00000000A0E4: D1C800E2 02052197
	v_add3_u32 v226, v151, v226, v229                          // 00000000A0EC: D1FF00E2 0797C597
	v_cndmask_b32_e64 v33, v226, v228, s[74:75]                // 00000000A0F4: D1000021 012BC9E2
	v_and_or_b32 v149, v33, v227, v32                          // 00000000A0FC: D2010095 0483C721
	v_cmp_u_f32_e64 s[74:75], v152, v152                       // 00000000A104: D048004A 00033198
	v_bfe_u32 v226, v152, 16, 1                                // 00000000A10C: D1C800E2 02052198
	v_add3_u32 v226, v152, v226, v229                          // 00000000A114: D1FF00E2 0797C598
	v_cndmask_b32_e64 v32, v226, v228, s[74:75]                // 00000000A11C: D1000020 012BC9E2
	v_lshrrev_b32_e32 v32, 16, v32                             // 00000000A124: 20404090
	v_cmp_u_f32_e64 s[74:75], v153, v153                       // 00000000A128: D048004A 00033399
	v_bfe_u32 v226, v153, 16, 1                                // 00000000A130: D1C800E2 02052199
	v_add3_u32 v226, v153, v226, v229                          // 00000000A138: D1FF00E2 0797C599
	v_cndmask_b32_e64 v33, v226, v228, s[74:75]                // 00000000A140: D1000021 012BC9E2
	v_and_or_b32 v150, v33, v227, v32                          // 00000000A148: D2010096 0483C721
	v_cmp_u_f32_e64 s[74:75], v154, v154                       // 00000000A150: D048004A 0003359A
	v_bfe_u32 v226, v154, 16, 1                                // 00000000A158: D1C800E2 0205219A
	v_add3_u32 v226, v154, v226, v229                          // 00000000A160: D1FF00E2 0797C59A
	v_cndmask_b32_e64 v32, v226, v228, s[74:75]                // 00000000A168: D1000020 012BC9E2
	v_lshrrev_b32_e32 v32, 16, v32                             // 00000000A170: 20404090
	v_cmp_u_f32_e64 s[74:75], v155, v155                       // 00000000A174: D048004A 0003379B
	v_bfe_u32 v226, v155, 16, 1                                // 00000000A17C: D1C800E2 0205219B
	v_add3_u32 v226, v155, v226, v229                          // 00000000A184: D1FF00E2 0797C59B
	v_cndmask_b32_e64 v33, v226, v228, s[74:75]                // 00000000A18C: D1000021 012BC9E2
	v_and_or_b32 v151, v33, v227, v32                          // 00000000A194: D2010097 0483C721
	ds_write_b64 v26, v[148:149] offset:31232                  // 00000000A19C: D89A7A00 0000941A
	ds_write_b64 v26, v[150:151] offset:31776                  // 00000000A1A4: D89A7C20 0000961A
	s_waitcnt lgkmcnt(0)                                       // 00000000A1AC: BF8CC07F
	s_barrier                                                  // 00000000A1B0: BF8A0000
	ds_read_b32 v156, v25 offset:31232                         // 00000000A1B4: D86C7A00 9C000019
	ds_read_b32 v157, v25 offset:31248                         // 00000000A1BC: D86C7A10 9D000019
	ds_read_b32 v158, v25 offset:31264                         // 00000000A1C4: D86C7A20 9E000019
	ds_read_b32 v159, v25 offset:31280                         // 00000000A1CC: D86C7A30 9F000019
	s_waitcnt lgkmcnt(0)                                       // 00000000A1D4: BF8CC07F
	s_barrier                                                  // 00000000A1D8: BF8A0000
	global_atomic_pk_add_bf16 v6, v156, s[32:33]               // 00000000A1DC: DD488000 00209C06
	global_atomic_pk_add_bf16 v8, v157, s[32:33]               // 00000000A1E4: DD488000 00209D08
	global_atomic_pk_add_bf16 v10, v158, s[32:33]              // 00000000A1EC: DD488000 00209E0A
	global_atomic_pk_add_bf16 v12, v159, s[32:33]              // 00000000A1F4: DD488000 00209F0C
	v_lshrrev_b32_e32 v32, 3, v0                               // 00000000A1FC: 20400083
	v_mul_i32_i24_e32 v30, 2, v32                              // 00000000A200: 0C3C4082
	v_and_b32_e32 v32, 7, v0                                   // 00000000A204: 26400087
	v_mul_i32_i24_e32 v33, 0x44, v32                           // 00000000A208: 0C4240FF 00000044
	v_add_u32_e32 v30, v33, v30                                // 00000000A210: 683C3D21
	s_mul_i32 s60, s47, 0x220                                  // 00000000A214: 923CFF2F 00000220
	v_add_u32_e32 v30, s60, v30                                // 00000000A21C: 683C3C3C
	v_lshlrev_b32_e32 v30, 2, v30                              // 00000000A220: 243C3C82
	v_accvgpr_read_b32 v34, a112                               // 00000000A224: D3D84022 18000170
	v_accvgpr_read_b32 v35, a113                               // 00000000A22C: D3D84023 18000171
	v_mul_f32_e32 v34, s48, v34                                // 00000000A234: 0A444430
	v_mul_f32_e32 v35, s48, v35                                // 00000000A238: 0A464630
	v_cmp_u_f32_e64 s[74:75], v34, v34                         // 00000000A23C: D048004A 00024522
	v_bfe_u32 v226, v34, 16, 1                                 // 00000000A244: D1C800E2 02052122
	v_add3_u32 v226, v34, v226, v229                           // 00000000A24C: D1FF00E2 0797C522
	v_cndmask_b32_e64 v32, v226, v228, s[74:75]                // 00000000A254: D1000020 012BC9E2
	v_lshrrev_b32_e32 v32, 16, v32                             // 00000000A25C: 20404090
	v_cmp_u_f32_e64 s[74:75], v35, v35                         // 00000000A260: D048004A 00024723
	v_bfe_u32 v226, v35, 16, 1                                 // 00000000A268: D1C800E2 02052123
	v_add3_u32 v226, v35, v226, v229                           // 00000000A270: D1FF00E2 0797C523
	v_cndmask_b32_e64 v33, v226, v228, s[74:75]                // 00000000A278: D1000021 012BC9E2
	v_and_or_b32 v52, v33, v227, v32                           // 00000000A280: D2010034 0483C721
	v_accvgpr_read_b32 v34, a114                               // 00000000A288: D3D84022 18000172
	v_accvgpr_read_b32 v35, a115                               // 00000000A290: D3D84023 18000173
	v_mul_f32_e32 v34, s48, v34                                // 00000000A298: 0A444430
	v_mul_f32_e32 v35, s48, v35                                // 00000000A29C: 0A464630
	v_cmp_u_f32_e64 s[74:75], v34, v34                         // 00000000A2A0: D048004A 00024522
	v_bfe_u32 v226, v34, 16, 1                                 // 00000000A2A8: D1C800E2 02052122
	v_add3_u32 v226, v34, v226, v229                           // 00000000A2B0: D1FF00E2 0797C522
	v_cndmask_b32_e64 v32, v226, v228, s[74:75]                // 00000000A2B8: D1000020 012BC9E2
	v_lshrrev_b32_e32 v32, 16, v32                             // 00000000A2C0: 20404090
	v_cmp_u_f32_e64 s[74:75], v35, v35                         // 00000000A2C4: D048004A 00024723
	v_bfe_u32 v226, v35, 16, 1                                 // 00000000A2CC: D1C800E2 02052123
	v_add3_u32 v226, v35, v226, v229                           // 00000000A2D4: D1FF00E2 0797C523
	v_cndmask_b32_e64 v33, v226, v228, s[74:75]                // 00000000A2DC: D1000021 012BC9E2
	v_and_or_b32 v53, v33, v227, v32                           // 00000000A2E4: D2010035 0483C721
	v_accvgpr_read_b32 v34, a116                               // 00000000A2EC: D3D84022 18000174
	v_accvgpr_read_b32 v35, a117                               // 00000000A2F4: D3D84023 18000175
	v_mul_f32_e32 v34, s48, v34                                // 00000000A2FC: 0A444430
	v_mul_f32_e32 v35, s48, v35                                // 00000000A300: 0A464630
	v_cmp_u_f32_e64 s[74:75], v34, v34                         // 00000000A304: D048004A 00024522
	v_bfe_u32 v226, v34, 16, 1                                 // 00000000A30C: D1C800E2 02052122
	v_add3_u32 v226, v34, v226, v229                           // 00000000A314: D1FF00E2 0797C522
	v_cndmask_b32_e64 v32, v226, v228, s[74:75]                // 00000000A31C: D1000020 012BC9E2
	v_lshrrev_b32_e32 v32, 16, v32                             // 00000000A324: 20404090
	v_cmp_u_f32_e64 s[74:75], v35, v35                         // 00000000A328: D048004A 00024723
	v_bfe_u32 v226, v35, 16, 1                                 // 00000000A330: D1C800E2 02052123
	v_add3_u32 v226, v35, v226, v229                           // 00000000A338: D1FF00E2 0797C523
	v_cndmask_b32_e64 v33, v226, v228, s[74:75]                // 00000000A340: D1000021 012BC9E2
	v_and_or_b32 v54, v33, v227, v32                           // 00000000A348: D2010036 0483C721
	v_accvgpr_read_b32 v34, a118                               // 00000000A350: D3D84022 18000176
	v_accvgpr_read_b32 v35, a119                               // 00000000A358: D3D84023 18000177
	v_mul_f32_e32 v34, s48, v34                                // 00000000A360: 0A444430
	v_mul_f32_e32 v35, s48, v35                                // 00000000A364: 0A464630
	v_cmp_u_f32_e64 s[74:75], v34, v34                         // 00000000A368: D048004A 00024522
	v_bfe_u32 v226, v34, 16, 1                                 // 00000000A370: D1C800E2 02052122
	v_add3_u32 v226, v34, v226, v229                           // 00000000A378: D1FF00E2 0797C522
	v_cndmask_b32_e64 v32, v226, v228, s[74:75]                // 00000000A380: D1000020 012BC9E2
	v_lshrrev_b32_e32 v32, 16, v32                             // 00000000A388: 20404090
	v_cmp_u_f32_e64 s[74:75], v35, v35                         // 00000000A38C: D048004A 00024723
	v_bfe_u32 v226, v35, 16, 1                                 // 00000000A394: D1C800E2 02052123
	v_add3_u32 v226, v35, v226, v229                           // 00000000A39C: D1FF00E2 0797C523
	v_cndmask_b32_e64 v33, v226, v228, s[74:75]                // 00000000A3A4: D1000021 012BC9E2
	v_and_or_b32 v55, v33, v227, v32                           // 00000000A3AC: D2010037 0483C721
	v_accvgpr_read_b32 v34, a120                               // 00000000A3B4: D3D84022 18000178
	v_accvgpr_read_b32 v35, a121                               // 00000000A3BC: D3D84023 18000179
	v_mul_f32_e32 v34, s48, v34                                // 00000000A3C4: 0A444430
	v_mul_f32_e32 v35, s48, v35                                // 00000000A3C8: 0A464630
	v_cmp_u_f32_e64 s[74:75], v34, v34                         // 00000000A3CC: D048004A 00024522
	v_bfe_u32 v226, v34, 16, 1                                 // 00000000A3D4: D1C800E2 02052122
	v_add3_u32 v226, v34, v226, v229                           // 00000000A3DC: D1FF00E2 0797C522
	v_cndmask_b32_e64 v32, v226, v228, s[74:75]                // 00000000A3E4: D1000020 012BC9E2
	v_lshrrev_b32_e32 v32, 16, v32                             // 00000000A3EC: 20404090
	v_cmp_u_f32_e64 s[74:75], v35, v35                         // 00000000A3F0: D048004A 00024723
	v_bfe_u32 v226, v35, 16, 1                                 // 00000000A3F8: D1C800E2 02052123
	v_add3_u32 v226, v35, v226, v229                           // 00000000A400: D1FF00E2 0797C523
	v_cndmask_b32_e64 v33, v226, v228, s[74:75]                // 00000000A408: D1000021 012BC9E2
	v_and_or_b32 v56, v33, v227, v32                           // 00000000A410: D2010038 0483C721
	v_accvgpr_read_b32 v34, a122                               // 00000000A418: D3D84022 1800017A
	v_accvgpr_read_b32 v35, a123                               // 00000000A420: D3D84023 1800017B
	v_mul_f32_e32 v34, s48, v34                                // 00000000A428: 0A444430
	v_mul_f32_e32 v35, s48, v35                                // 00000000A42C: 0A464630
	v_cmp_u_f32_e64 s[74:75], v34, v34                         // 00000000A430: D048004A 00024522
	v_bfe_u32 v226, v34, 16, 1                                 // 00000000A438: D1C800E2 02052122
	v_add3_u32 v226, v34, v226, v229                           // 00000000A440: D1FF00E2 0797C522
	v_cndmask_b32_e64 v32, v226, v228, s[74:75]                // 00000000A448: D1000020 012BC9E2
	v_lshrrev_b32_e32 v32, 16, v32                             // 00000000A450: 20404090
	v_cmp_u_f32_e64 s[74:75], v35, v35                         // 00000000A454: D048004A 00024723
	v_bfe_u32 v226, v35, 16, 1                                 // 00000000A45C: D1C800E2 02052123
	v_add3_u32 v226, v35, v226, v229                           // 00000000A464: D1FF00E2 0797C523
	v_cndmask_b32_e64 v33, v226, v228, s[74:75]                // 00000000A46C: D1000021 012BC9E2
	v_and_or_b32 v57, v33, v227, v32                           // 00000000A474: D2010039 0483C721
	v_accvgpr_read_b32 v34, a124                               // 00000000A47C: D3D84022 1800017C
	v_accvgpr_read_b32 v35, a125                               // 00000000A484: D3D84023 1800017D
	v_mul_f32_e32 v34, s48, v34                                // 00000000A48C: 0A444430
	v_mul_f32_e32 v35, s48, v35                                // 00000000A490: 0A464630
	v_cmp_u_f32_e64 s[74:75], v34, v34                         // 00000000A494: D048004A 00024522
	v_bfe_u32 v226, v34, 16, 1                                 // 00000000A49C: D1C800E2 02052122
	v_add3_u32 v226, v34, v226, v229                           // 00000000A4A4: D1FF00E2 0797C522
	v_cndmask_b32_e64 v32, v226, v228, s[74:75]                // 00000000A4AC: D1000020 012BC9E2
	v_lshrrev_b32_e32 v32, 16, v32                             // 00000000A4B4: 20404090
	v_cmp_u_f32_e64 s[74:75], v35, v35                         // 00000000A4B8: D048004A 00024723
	v_bfe_u32 v226, v35, 16, 1                                 // 00000000A4C0: D1C800E2 02052123
	v_add3_u32 v226, v35, v226, v229                           // 00000000A4C8: D1FF00E2 0797C523
	v_cndmask_b32_e64 v33, v226, v228, s[74:75]                // 00000000A4D0: D1000021 012BC9E2
	v_and_or_b32 v58, v33, v227, v32                           // 00000000A4D8: D201003A 0483C721
	v_accvgpr_read_b32 v34, a126                               // 00000000A4E0: D3D84022 1800017E
	v_accvgpr_read_b32 v35, a127                               // 00000000A4E8: D3D84023 1800017F
	v_mul_f32_e32 v34, s48, v34                                // 00000000A4F0: 0A444430
	v_mul_f32_e32 v35, s48, v35                                // 00000000A4F4: 0A464630
	v_cmp_u_f32_e64 s[74:75], v34, v34                         // 00000000A4F8: D048004A 00024522
	v_bfe_u32 v226, v34, 16, 1                                 // 00000000A500: D1C800E2 02052122
	v_add3_u32 v226, v34, v226, v229                           // 00000000A508: D1FF00E2 0797C522
	v_cndmask_b32_e64 v32, v226, v228, s[74:75]                // 00000000A510: D1000020 012BC9E2
	v_lshrrev_b32_e32 v32, 16, v32                             // 00000000A518: 20404090
	v_cmp_u_f32_e64 s[74:75], v35, v35                         // 00000000A51C: D048004A 00024723
	v_bfe_u32 v226, v35, 16, 1                                 // 00000000A524: D1C800E2 02052123
	v_add3_u32 v226, v35, v226, v229                           // 00000000A52C: D1FF00E2 0797C523
	v_cndmask_b32_e64 v33, v226, v228, s[74:75]                // 00000000A534: D1000021 012BC9E2
	v_and_or_b32 v59, v33, v227, v32                           // 00000000A53C: D201003B 0483C721
	ds_write_b64 v31, v[52:53]                                 // 00000000A544: D89A0000 0000341F
	ds_write_b64 v31, v[54:55] offset:544                      // 00000000A54C: D89A0220 0000361F
	ds_write_b64 v31, v[56:57] offset:1088                     // 00000000A554: D89A0440 0000381F
	ds_write_b64 v31, v[58:59] offset:1632                     // 00000000A55C: D89A0660 00003A1F
	s_waitcnt lgkmcnt(0)                                       // 00000000A564: BF8CC07F
	s_barrier                                                  // 00000000A568: BF8A0000
	ds_read_b64 v[52:53], v30                                  // 00000000A56C: D8EC0000 3400001E
	ds_read_b64 v[54:55], v30 offset:128                       // 00000000A574: D8EC0080 3600001E
	ds_read_b64 v[56:57], v30 offset:64                        // 00000000A57C: D8EC0040 3800001E
	ds_read_b64 v[58:59], v30 offset:192                       // 00000000A584: D8EC00C0 3A00001E
	s_waitcnt lgkmcnt(0)                                       // 00000000A58C: BF8CC07F
	buffer_store_dwordx4 v[52:55], v5, s[36:39], 0 idxen       // 00000000A590: E07C2000 80093405
	s_mul_i32 s60, 2, s46                                      // 00000000A598: 923C2E82
	v_add_u32_e32 v5, s60, v5                                  // 00000000A59C: 680A0A3C
	buffer_store_dwordx4 v[56:59], v5, s[36:39], 0 idxen       // 00000000A5A0: E07C2000 80093805
	s_mul_i32 s60, 2, s46                                      // 00000000A5A8: 923C2E82
	v_add_u32_e32 v5, s60, v5                                  // 00000000A5AC: 680A0A3C
	s_mul_i32 s60, 12, s46                                     // 00000000A5B0: 923C2E8C
	v_add_u32_e32 v5, s60, v5                                  // 00000000A5B4: 680A0A3C
	s_barrier                                                  // 00000000A5B8: BF8A0000
	s_cmp_ge_i32 1, s73                                        // 00000000A5BC: BF034981
	s_cbranch_scc1 label_1BC1                                  // 00000000A5C0: BF8501D0
	v_accvgpr_read_b32 v34, a128                               // 00000000A5C4: D3D84022 18000180
	v_accvgpr_read_b32 v35, a129                               // 00000000A5CC: D3D84023 18000181
	v_mul_f32_e32 v34, s48, v34                                // 00000000A5D4: 0A444430
	v_mul_f32_e32 v35, s48, v35                                // 00000000A5D8: 0A464630
	v_cmp_u_f32_e64 s[74:75], v34, v34                         // 00000000A5DC: D048004A 00024522
	v_bfe_u32 v226, v34, 16, 1                                 // 00000000A5E4: D1C800E2 02052122
	v_add3_u32 v226, v34, v226, v229                           // 00000000A5EC: D1FF00E2 0797C522
	v_cndmask_b32_e64 v32, v226, v228, s[74:75]                // 00000000A5F4: D1000020 012BC9E2
	v_lshrrev_b32_e32 v32, 16, v32                             // 00000000A5FC: 20404090
	v_cmp_u_f32_e64 s[74:75], v35, v35                         // 00000000A600: D048004A 00024723
	v_bfe_u32 v226, v35, 16, 1                                 // 00000000A608: D1C800E2 02052123
	v_add3_u32 v226, v35, v226, v229                           // 00000000A610: D1FF00E2 0797C523
	v_cndmask_b32_e64 v33, v226, v228, s[74:75]                // 00000000A618: D1000021 012BC9E2
	v_and_or_b32 v60, v33, v227, v32                           // 00000000A620: D201003C 0483C721
	v_accvgpr_read_b32 v34, a130                               // 00000000A628: D3D84022 18000182
	v_accvgpr_read_b32 v35, a131                               // 00000000A630: D3D84023 18000183
	v_mul_f32_e32 v34, s48, v34                                // 00000000A638: 0A444430
	v_mul_f32_e32 v35, s48, v35                                // 00000000A63C: 0A464630
	v_cmp_u_f32_e64 s[74:75], v34, v34                         // 00000000A640: D048004A 00024522
	v_bfe_u32 v226, v34, 16, 1                                 // 00000000A648: D1C800E2 02052122
	v_add3_u32 v226, v34, v226, v229                           // 00000000A650: D1FF00E2 0797C522
	v_cndmask_b32_e64 v32, v226, v228, s[74:75]                // 00000000A658: D1000020 012BC9E2
	v_lshrrev_b32_e32 v32, 16, v32                             // 00000000A660: 20404090
	v_cmp_u_f32_e64 s[74:75], v35, v35                         // 00000000A664: D048004A 00024723
	v_bfe_u32 v226, v35, 16, 1                                 // 00000000A66C: D1C800E2 02052123
	v_add3_u32 v226, v35, v226, v229                           // 00000000A674: D1FF00E2 0797C523
	v_cndmask_b32_e64 v33, v226, v228, s[74:75]                // 00000000A67C: D1000021 012BC9E2
	v_and_or_b32 v61, v33, v227, v32                           // 00000000A684: D201003D 0483C721
	v_accvgpr_read_b32 v34, a132                               // 00000000A68C: D3D84022 18000184
	v_accvgpr_read_b32 v35, a133                               // 00000000A694: D3D84023 18000185
	v_mul_f32_e32 v34, s48, v34                                // 00000000A69C: 0A444430
	v_mul_f32_e32 v35, s48, v35                                // 00000000A6A0: 0A464630
	v_cmp_u_f32_e64 s[74:75], v34, v34                         // 00000000A6A4: D048004A 00024522
	v_bfe_u32 v226, v34, 16, 1                                 // 00000000A6AC: D1C800E2 02052122
	v_add3_u32 v226, v34, v226, v229                           // 00000000A6B4: D1FF00E2 0797C522
	v_cndmask_b32_e64 v32, v226, v228, s[74:75]                // 00000000A6BC: D1000020 012BC9E2
	v_lshrrev_b32_e32 v32, 16, v32                             // 00000000A6C4: 20404090
	v_cmp_u_f32_e64 s[74:75], v35, v35                         // 00000000A6C8: D048004A 00024723
	v_bfe_u32 v226, v35, 16, 1                                 // 00000000A6D0: D1C800E2 02052123
	v_add3_u32 v226, v35, v226, v229                           // 00000000A6D8: D1FF00E2 0797C523
	v_cndmask_b32_e64 v33, v226, v228, s[74:75]                // 00000000A6E0: D1000021 012BC9E2
	v_and_or_b32 v62, v33, v227, v32                           // 00000000A6E8: D201003E 0483C721
	v_accvgpr_read_b32 v34, a134                               // 00000000A6F0: D3D84022 18000186
	v_accvgpr_read_b32 v35, a135                               // 00000000A6F8: D3D84023 18000187
	v_mul_f32_e32 v34, s48, v34                                // 00000000A700: 0A444430
	v_mul_f32_e32 v35, s48, v35                                // 00000000A704: 0A464630
	v_cmp_u_f32_e64 s[74:75], v34, v34                         // 00000000A708: D048004A 00024522
	v_bfe_u32 v226, v34, 16, 1                                 // 00000000A710: D1C800E2 02052122
	v_add3_u32 v226, v34, v226, v229                           // 00000000A718: D1FF00E2 0797C522
	v_cndmask_b32_e64 v32, v226, v228, s[74:75]                // 00000000A720: D1000020 012BC9E2
	v_lshrrev_b32_e32 v32, 16, v32                             // 00000000A728: 20404090
	v_cmp_u_f32_e64 s[74:75], v35, v35                         // 00000000A72C: D048004A 00024723
	v_bfe_u32 v226, v35, 16, 1                                 // 00000000A734: D1C800E2 02052123
	v_add3_u32 v226, v35, v226, v229                           // 00000000A73C: D1FF00E2 0797C523
	v_cndmask_b32_e64 v33, v226, v228, s[74:75]                // 00000000A744: D1000021 012BC9E2
	v_and_or_b32 v63, v33, v227, v32                           // 00000000A74C: D201003F 0483C721
	v_accvgpr_read_b32 v34, a136                               // 00000000A754: D3D84022 18000188
	v_accvgpr_read_b32 v35, a137                               // 00000000A75C: D3D84023 18000189
	v_mul_f32_e32 v34, s48, v34                                // 00000000A764: 0A444430
	v_mul_f32_e32 v35, s48, v35                                // 00000000A768: 0A464630
	v_cmp_u_f32_e64 s[74:75], v34, v34                         // 00000000A76C: D048004A 00024522
	v_bfe_u32 v226, v34, 16, 1                                 // 00000000A774: D1C800E2 02052122
	v_add3_u32 v226, v34, v226, v229                           // 00000000A77C: D1FF00E2 0797C522
	v_cndmask_b32_e64 v32, v226, v228, s[74:75]                // 00000000A784: D1000020 012BC9E2
	v_lshrrev_b32_e32 v32, 16, v32                             // 00000000A78C: 20404090
	v_cmp_u_f32_e64 s[74:75], v35, v35                         // 00000000A790: D048004A 00024723
	v_bfe_u32 v226, v35, 16, 1                                 // 00000000A798: D1C800E2 02052123
	v_add3_u32 v226, v35, v226, v229                           // 00000000A7A0: D1FF00E2 0797C523
	v_cndmask_b32_e64 v33, v226, v228, s[74:75]                // 00000000A7A8: D1000021 012BC9E2
	v_and_or_b32 v64, v33, v227, v32                           // 00000000A7B0: D2010040 0483C721
	v_accvgpr_read_b32 v34, a138                               // 00000000A7B8: D3D84022 1800018A
	v_accvgpr_read_b32 v35, a139                               // 00000000A7C0: D3D84023 1800018B
	v_mul_f32_e32 v34, s48, v34                                // 00000000A7C8: 0A444430
	v_mul_f32_e32 v35, s48, v35                                // 00000000A7CC: 0A464630
	v_cmp_u_f32_e64 s[74:75], v34, v34                         // 00000000A7D0: D048004A 00024522
	v_bfe_u32 v226, v34, 16, 1                                 // 00000000A7D8: D1C800E2 02052122
	v_add3_u32 v226, v34, v226, v229                           // 00000000A7E0: D1FF00E2 0797C522
	v_cndmask_b32_e64 v32, v226, v228, s[74:75]                // 00000000A7E8: D1000020 012BC9E2
	v_lshrrev_b32_e32 v32, 16, v32                             // 00000000A7F0: 20404090
	v_cmp_u_f32_e64 s[74:75], v35, v35                         // 00000000A7F4: D048004A 00024723
	v_bfe_u32 v226, v35, 16, 1                                 // 00000000A7FC: D1C800E2 02052123
	v_add3_u32 v226, v35, v226, v229                           // 00000000A804: D1FF00E2 0797C523
	v_cndmask_b32_e64 v33, v226, v228, s[74:75]                // 00000000A80C: D1000021 012BC9E2
	v_and_or_b32 v65, v33, v227, v32                           // 00000000A814: D2010041 0483C721
	v_accvgpr_read_b32 v34, a140                               // 00000000A81C: D3D84022 1800018C
	v_accvgpr_read_b32 v35, a141                               // 00000000A824: D3D84023 1800018D
	v_mul_f32_e32 v34, s48, v34                                // 00000000A82C: 0A444430
	v_mul_f32_e32 v35, s48, v35                                // 00000000A830: 0A464630
	v_cmp_u_f32_e64 s[74:75], v34, v34                         // 00000000A834: D048004A 00024522
	v_bfe_u32 v226, v34, 16, 1                                 // 00000000A83C: D1C800E2 02052122
	v_add3_u32 v226, v34, v226, v229                           // 00000000A844: D1FF00E2 0797C522
	v_cndmask_b32_e64 v32, v226, v228, s[74:75]                // 00000000A84C: D1000020 012BC9E2
	v_lshrrev_b32_e32 v32, 16, v32                             // 00000000A854: 20404090
	v_cmp_u_f32_e64 s[74:75], v35, v35                         // 00000000A858: D048004A 00024723
	v_bfe_u32 v226, v35, 16, 1                                 // 00000000A860: D1C800E2 02052123
	v_add3_u32 v226, v35, v226, v229                           // 00000000A868: D1FF00E2 0797C523
	v_cndmask_b32_e64 v33, v226, v228, s[74:75]                // 00000000A870: D1000021 012BC9E2
	v_and_or_b32 v66, v33, v227, v32                           // 00000000A878: D2010042 0483C721
	v_accvgpr_read_b32 v34, a142                               // 00000000A880: D3D84022 1800018E
	v_accvgpr_read_b32 v35, a143                               // 00000000A888: D3D84023 1800018F
	v_mul_f32_e32 v34, s48, v34                                // 00000000A890: 0A444430
	v_mul_f32_e32 v35, s48, v35                                // 00000000A894: 0A464630
	v_cmp_u_f32_e64 s[74:75], v34, v34                         // 00000000A898: D048004A 00024522
	v_bfe_u32 v226, v34, 16, 1                                 // 00000000A8A0: D1C800E2 02052122
	v_add3_u32 v226, v34, v226, v229                           // 00000000A8A8: D1FF00E2 0797C522
	v_cndmask_b32_e64 v32, v226, v228, s[74:75]                // 00000000A8B0: D1000020 012BC9E2
	v_lshrrev_b32_e32 v32, 16, v32                             // 00000000A8B8: 20404090
	v_cmp_u_f32_e64 s[74:75], v35, v35                         // 00000000A8BC: D048004A 00024723
	v_bfe_u32 v226, v35, 16, 1                                 // 00000000A8C4: D1C800E2 02052123
	v_add3_u32 v226, v35, v226, v229                           // 00000000A8CC: D1FF00E2 0797C523
	v_cndmask_b32_e64 v33, v226, v228, s[74:75]                // 00000000A8D4: D1000021 012BC9E2
	v_and_or_b32 v67, v33, v227, v32                           // 00000000A8DC: D2010043 0483C721
	ds_write_b64 v31, v[60:61] offset:8704                     // 00000000A8E4: D89A2200 00003C1F
	ds_write_b64 v31, v[62:63] offset:9248                     // 00000000A8EC: D89A2420 00003E1F
	ds_write_b64 v31, v[64:65] offset:9792                     // 00000000A8F4: D89A2640 0000401F
	ds_write_b64 v31, v[66:67] offset:10336                    // 00000000A8FC: D89A2860 0000421F
	s_waitcnt lgkmcnt(0)                                       // 00000000A904: BF8CC07F
	s_barrier                                                  // 00000000A908: BF8A0000
	ds_read_b64 v[60:61], v30 offset:8704                      // 00000000A90C: D8EC2200 3C00001E
	ds_read_b64 v[62:63], v30 offset:8832                      // 00000000A914: D8EC2280 3E00001E
	ds_read_b64 v[64:65], v30 offset:8768                      // 00000000A91C: D8EC2240 4000001E
	ds_read_b64 v[66:67], v30 offset:8896                      // 00000000A924: D8EC22C0 4200001E
	s_waitcnt lgkmcnt(0)                                       // 00000000A92C: BF8CC07F
	buffer_store_dwordx4 v[60:63], v5, s[36:39], 0 idxen       // 00000000A930: E07C2000 80093C05
	s_mul_i32 s60, 2, s46                                      // 00000000A938: 923C2E82
	v_add_u32_e32 v5, s60, v5                                  // 00000000A93C: 680A0A3C
	buffer_store_dwordx4 v[64:67], v5, s[36:39], 0 idxen       // 00000000A940: E07C2000 80094005
	s_mul_i32 s60, 2, s46                                      // 00000000A948: 923C2E82
	v_add_u32_e32 v5, s60, v5                                  // 00000000A94C: 680A0A3C
	s_mul_i32 s60, 12, s46                                     // 00000000A950: 923C2E8C
	v_add_u32_e32 v5, s60, v5                                  // 00000000A954: 680A0A3C
	s_barrier                                                  // 00000000A958: BF8A0000
	s_cmp_ge_i32 2, s73                                        // 00000000A95C: BF034982
	s_cbranch_scc1 label_1BC1                                  // 00000000A960: BF8500E8
	v_accvgpr_read_b32 v34, a144                               // 00000000A964: D3D84022 18000190
	v_accvgpr_read_b32 v35, a145                               // 00000000A96C: D3D84023 18000191
	v_mul_f32_e32 v34, s48, v34                                // 00000000A974: 0A444430
	v_mul_f32_e32 v35, s48, v35                                // 00000000A978: 0A464630
	v_cmp_u_f32_e64 s[74:75], v34, v34                         // 00000000A97C: D048004A 00024522
	v_bfe_u32 v226, v34, 16, 1                                 // 00000000A984: D1C800E2 02052122
	v_add3_u32 v226, v34, v226, v229                           // 00000000A98C: D1FF00E2 0797C522
	v_cndmask_b32_e64 v32, v226, v228, s[74:75]                // 00000000A994: D1000020 012BC9E2
	v_lshrrev_b32_e32 v32, 16, v32                             // 00000000A99C: 20404090
	v_cmp_u_f32_e64 s[74:75], v35, v35                         // 00000000A9A0: D048004A 00024723
	v_bfe_u32 v226, v35, 16, 1                                 // 00000000A9A8: D1C800E2 02052123
	v_add3_u32 v226, v35, v226, v229                           // 00000000A9B0: D1FF00E2 0797C523
	v_cndmask_b32_e64 v33, v226, v228, s[74:75]                // 00000000A9B8: D1000021 012BC9E2
	v_and_or_b32 v68, v33, v227, v32                           // 00000000A9C0: D2010044 0483C721
	v_accvgpr_read_b32 v34, a146                               // 00000000A9C8: D3D84022 18000192
	v_accvgpr_read_b32 v35, a147                               // 00000000A9D0: D3D84023 18000193
	v_mul_f32_e32 v34, s48, v34                                // 00000000A9D8: 0A444430
	v_mul_f32_e32 v35, s48, v35                                // 00000000A9DC: 0A464630
	v_cmp_u_f32_e64 s[74:75], v34, v34                         // 00000000A9E0: D048004A 00024522
	v_bfe_u32 v226, v34, 16, 1                                 // 00000000A9E8: D1C800E2 02052122
	v_add3_u32 v226, v34, v226, v229                           // 00000000A9F0: D1FF00E2 0797C522
	v_cndmask_b32_e64 v32, v226, v228, s[74:75]                // 00000000A9F8: D1000020 012BC9E2
	v_lshrrev_b32_e32 v32, 16, v32                             // 00000000AA00: 20404090
	v_cmp_u_f32_e64 s[74:75], v35, v35                         // 00000000AA04: D048004A 00024723
	v_bfe_u32 v226, v35, 16, 1                                 // 00000000AA0C: D1C800E2 02052123
	v_add3_u32 v226, v35, v226, v229                           // 00000000AA14: D1FF00E2 0797C523
	v_cndmask_b32_e64 v33, v226, v228, s[74:75]                // 00000000AA1C: D1000021 012BC9E2
	v_and_or_b32 v69, v33, v227, v32                           // 00000000AA24: D2010045 0483C721
	v_accvgpr_read_b32 v34, a148                               // 00000000AA2C: D3D84022 18000194
	v_accvgpr_read_b32 v35, a149                               // 00000000AA34: D3D84023 18000195
	v_mul_f32_e32 v34, s48, v34                                // 00000000AA3C: 0A444430
	v_mul_f32_e32 v35, s48, v35                                // 00000000AA40: 0A464630
	v_cmp_u_f32_e64 s[74:75], v34, v34                         // 00000000AA44: D048004A 00024522
	v_bfe_u32 v226, v34, 16, 1                                 // 00000000AA4C: D1C800E2 02052122
	v_add3_u32 v226, v34, v226, v229                           // 00000000AA54: D1FF00E2 0797C522
	v_cndmask_b32_e64 v32, v226, v228, s[74:75]                // 00000000AA5C: D1000020 012BC9E2
	v_lshrrev_b32_e32 v32, 16, v32                             // 00000000AA64: 20404090
	v_cmp_u_f32_e64 s[74:75], v35, v35                         // 00000000AA68: D048004A 00024723
	v_bfe_u32 v226, v35, 16, 1                                 // 00000000AA70: D1C800E2 02052123
	v_add3_u32 v226, v35, v226, v229                           // 00000000AA78: D1FF00E2 0797C523
	v_cndmask_b32_e64 v33, v226, v228, s[74:75]                // 00000000AA80: D1000021 012BC9E2
	v_and_or_b32 v70, v33, v227, v32                           // 00000000AA88: D2010046 0483C721
	v_accvgpr_read_b32 v34, a150                               // 00000000AA90: D3D84022 18000196
	v_accvgpr_read_b32 v35, a151                               // 00000000AA98: D3D84023 18000197
	v_mul_f32_e32 v34, s48, v34                                // 00000000AAA0: 0A444430
	v_mul_f32_e32 v35, s48, v35                                // 00000000AAA4: 0A464630
	v_cmp_u_f32_e64 s[74:75], v34, v34                         // 00000000AAA8: D048004A 00024522
	v_bfe_u32 v226, v34, 16, 1                                 // 00000000AAB0: D1C800E2 02052122
	v_add3_u32 v226, v34, v226, v229                           // 00000000AAB8: D1FF00E2 0797C522
	v_cndmask_b32_e64 v32, v226, v228, s[74:75]                // 00000000AAC0: D1000020 012BC9E2
	v_lshrrev_b32_e32 v32, 16, v32                             // 00000000AAC8: 20404090
	v_cmp_u_f32_e64 s[74:75], v35, v35                         // 00000000AACC: D048004A 00024723
	v_bfe_u32 v226, v35, 16, 1                                 // 00000000AAD4: D1C800E2 02052123
	v_add3_u32 v226, v35, v226, v229                           // 00000000AADC: D1FF00E2 0797C523
	v_cndmask_b32_e64 v33, v226, v228, s[74:75]                // 00000000AAE4: D1000021 012BC9E2
	v_and_or_b32 v71, v33, v227, v32                           // 00000000AAEC: D2010047 0483C721
	v_accvgpr_read_b32 v34, a152                               // 00000000AAF4: D3D84022 18000198
	v_accvgpr_read_b32 v35, a153                               // 00000000AAFC: D3D84023 18000199
	v_mul_f32_e32 v34, s48, v34                                // 00000000AB04: 0A444430
	v_mul_f32_e32 v35, s48, v35                                // 00000000AB08: 0A464630
	v_cmp_u_f32_e64 s[74:75], v34, v34                         // 00000000AB0C: D048004A 00024522
	v_bfe_u32 v226, v34, 16, 1                                 // 00000000AB14: D1C800E2 02052122
	v_add3_u32 v226, v34, v226, v229                           // 00000000AB1C: D1FF00E2 0797C522
	v_cndmask_b32_e64 v32, v226, v228, s[74:75]                // 00000000AB24: D1000020 012BC9E2
	v_lshrrev_b32_e32 v32, 16, v32                             // 00000000AB2C: 20404090
	v_cmp_u_f32_e64 s[74:75], v35, v35                         // 00000000AB30: D048004A 00024723
	v_bfe_u32 v226, v35, 16, 1                                 // 00000000AB38: D1C800E2 02052123
	v_add3_u32 v226, v35, v226, v229                           // 00000000AB40: D1FF00E2 0797C523
	v_cndmask_b32_e64 v33, v226, v228, s[74:75]                // 00000000AB48: D1000021 012BC9E2
	v_and_or_b32 v72, v33, v227, v32                           // 00000000AB50: D2010048 0483C721
	v_accvgpr_read_b32 v34, a154                               // 00000000AB58: D3D84022 1800019A
	v_accvgpr_read_b32 v35, a155                               // 00000000AB60: D3D84023 1800019B
	v_mul_f32_e32 v34, s48, v34                                // 00000000AB68: 0A444430
	v_mul_f32_e32 v35, s48, v35                                // 00000000AB6C: 0A464630
	v_cmp_u_f32_e64 s[74:75], v34, v34                         // 00000000AB70: D048004A 00024522
	v_bfe_u32 v226, v34, 16, 1                                 // 00000000AB78: D1C800E2 02052122
	v_add3_u32 v226, v34, v226, v229                           // 00000000AB80: D1FF00E2 0797C522
	v_cndmask_b32_e64 v32, v226, v228, s[74:75]                // 00000000AB88: D1000020 012BC9E2
	v_lshrrev_b32_e32 v32, 16, v32                             // 00000000AB90: 20404090
	v_cmp_u_f32_e64 s[74:75], v35, v35                         // 00000000AB94: D048004A 00024723
	v_bfe_u32 v226, v35, 16, 1                                 // 00000000AB9C: D1C800E2 02052123
	v_add3_u32 v226, v35, v226, v229                           // 00000000ABA4: D1FF00E2 0797C523
	v_cndmask_b32_e64 v33, v226, v228, s[74:75]                // 00000000ABAC: D1000021 012BC9E2
	v_and_or_b32 v73, v33, v227, v32                           // 00000000ABB4: D2010049 0483C721
	v_accvgpr_read_b32 v34, a156                               // 00000000ABBC: D3D84022 1800019C
	v_accvgpr_read_b32 v35, a157                               // 00000000ABC4: D3D84023 1800019D
	v_mul_f32_e32 v34, s48, v34                                // 00000000ABCC: 0A444430
	v_mul_f32_e32 v35, s48, v35                                // 00000000ABD0: 0A464630
	v_cmp_u_f32_e64 s[74:75], v34, v34                         // 00000000ABD4: D048004A 00024522
	v_bfe_u32 v226, v34, 16, 1                                 // 00000000ABDC: D1C800E2 02052122
	v_add3_u32 v226, v34, v226, v229                           // 00000000ABE4: D1FF00E2 0797C522
	v_cndmask_b32_e64 v32, v226, v228, s[74:75]                // 00000000ABEC: D1000020 012BC9E2
	v_lshrrev_b32_e32 v32, 16, v32                             // 00000000ABF4: 20404090
	v_cmp_u_f32_e64 s[74:75], v35, v35                         // 00000000ABF8: D048004A 00024723
	v_bfe_u32 v226, v35, 16, 1                                 // 00000000AC00: D1C800E2 02052123
	v_add3_u32 v226, v35, v226, v229                           // 00000000AC08: D1FF00E2 0797C523
	v_cndmask_b32_e64 v33, v226, v228, s[74:75]                // 00000000AC10: D1000021 012BC9E2
	v_and_or_b32 v74, v33, v227, v32                           // 00000000AC18: D201004A 0483C721
	v_accvgpr_read_b32 v34, a158                               // 00000000AC20: D3D84022 1800019E
	v_accvgpr_read_b32 v35, a159                               // 00000000AC28: D3D84023 1800019F
	v_mul_f32_e32 v34, s48, v34                                // 00000000AC30: 0A444430
	v_mul_f32_e32 v35, s48, v35                                // 00000000AC34: 0A464630
	v_cmp_u_f32_e64 s[74:75], v34, v34                         // 00000000AC38: D048004A 00024522
	v_bfe_u32 v226, v34, 16, 1                                 // 00000000AC40: D1C800E2 02052122
	v_add3_u32 v226, v34, v226, v229                           // 00000000AC48: D1FF00E2 0797C522
	v_cndmask_b32_e64 v32, v226, v228, s[74:75]                // 00000000AC50: D1000020 012BC9E2
	v_lshrrev_b32_e32 v32, 16, v32                             // 00000000AC58: 20404090
	v_cmp_u_f32_e64 s[74:75], v35, v35                         // 00000000AC5C: D048004A 00024723
	v_bfe_u32 v226, v35, 16, 1                                 // 00000000AC64: D1C800E2 02052123
	v_add3_u32 v226, v35, v226, v229                           // 00000000AC6C: D1FF00E2 0797C523
	v_cndmask_b32_e64 v33, v226, v228, s[74:75]                // 00000000AC74: D1000021 012BC9E2
	v_and_or_b32 v75, v33, v227, v32                           // 00000000AC7C: D201004B 0483C721
	ds_write_b64 v31, v[68:69] offset:17408                    // 00000000AC84: D89A4400 0000441F
	ds_write_b64 v31, v[70:71] offset:17952                    // 00000000AC8C: D89A4620 0000461F
	ds_write_b64 v31, v[72:73] offset:18496                    // 00000000AC94: D89A4840 0000481F
	ds_write_b64 v31, v[74:75] offset:19040                    // 00000000AC9C: D89A4A60 00004A1F
	s_waitcnt lgkmcnt(0)                                       // 00000000ACA4: BF8CC07F
	s_barrier                                                  // 00000000ACA8: BF8A0000
	ds_read_b64 v[68:69], v30 offset:17408                     // 00000000ACAC: D8EC4400 4400001E
	ds_read_b64 v[70:71], v30 offset:17536                     // 00000000ACB4: D8EC4480 4600001E
	ds_read_b64 v[72:73], v30 offset:17472                     // 00000000ACBC: D8EC4440 4800001E
	ds_read_b64 v[74:75], v30 offset:17600                     // 00000000ACC4: D8EC44C0 4A00001E
	s_waitcnt lgkmcnt(0)                                       // 00000000ACCC: BF8CC07F
	buffer_store_dwordx4 v[68:71], v5, s[36:39], 0 idxen       // 00000000ACD0: E07C2000 80094405
	s_mul_i32 s60, 2, s46                                      // 00000000ACD8: 923C2E82
	v_add_u32_e32 v5, s60, v5                                  // 00000000ACDC: 680A0A3C
	buffer_store_dwordx4 v[72:75], v5, s[36:39], 0 idxen       // 00000000ACE0: E07C2000 80094805
	s_mul_i32 s60, 2, s46                                      // 00000000ACE8: 923C2E82
	v_add_u32_e32 v5, s60, v5                                  // 00000000ACEC: 680A0A3C
	s_mul_i32 s60, 12, s46                                     // 00000000ACF0: 923C2E8C
	v_add_u32_e32 v5, s60, v5                                  // 00000000ACF4: 680A0A3C
	s_barrier                                                  // 00000000ACF8: BF8A0000
	s_cmp_ge_i32 3, s73                                        // 00000000ACFC: BF034983
	s_cbranch_scc1 label_1BC1                                  // 00000000AD00: BF850000

000000000000ad04 <label_1BC1>:
	v_mov_b32_e32 v34, v178                                    // 00000000AD04: 7E4403B2
	v_mov_b32_e32 v35, v179                                    // 00000000AD08: 7E4603B3
	v_cmp_u_f32_e64 s[74:75], v34, v34                         // 00000000AD0C: D048004A 00024522
	v_bfe_u32 v226, v34, 16, 1                                 // 00000000AD14: D1C800E2 02052122
	v_add3_u32 v226, v34, v226, v229                           // 00000000AD1C: D1FF00E2 0797C522
	v_cndmask_b32_e64 v32, v226, v228, s[74:75]                // 00000000AD24: D1000020 012BC9E2
	v_lshrrev_b32_e32 v32, 16, v32                             // 00000000AD2C: 20404090
	v_cmp_u_f32_e64 s[74:75], v35, v35                         // 00000000AD30: D048004A 00024723
	v_bfe_u32 v226, v35, 16, 1                                 // 00000000AD38: D1C800E2 02052123
	v_add3_u32 v226, v35, v226, v229                           // 00000000AD40: D1FF00E2 0797C523
	v_cndmask_b32_e64 v33, v226, v228, s[74:75]                // 00000000AD48: D1000021 012BC9E2
	v_and_or_b32 v178, v33, v227, v32                          // 00000000AD50: D20100B2 0483C721
	v_mov_b32_e32 v34, v180                                    // 00000000AD58: 7E4403B4
	v_mov_b32_e32 v35, v181                                    // 00000000AD5C: 7E4603B5
	v_cmp_u_f32_e64 s[74:75], v34, v34                         // 00000000AD60: D048004A 00024522
	v_bfe_u32 v226, v34, 16, 1                                 // 00000000AD68: D1C800E2 02052122
	v_add3_u32 v226, v34, v226, v229                           // 00000000AD70: D1FF00E2 0797C522
	v_cndmask_b32_e64 v32, v226, v228, s[74:75]                // 00000000AD78: D1000020 012BC9E2
	v_lshrrev_b32_e32 v32, 16, v32                             // 00000000AD80: 20404090
	v_cmp_u_f32_e64 s[74:75], v35, v35                         // 00000000AD84: D048004A 00024723
	v_bfe_u32 v226, v35, 16, 1                                 // 00000000AD8C: D1C800E2 02052123
	v_add3_u32 v226, v35, v226, v229                           // 00000000AD94: D1FF00E2 0797C523
	v_cndmask_b32_e64 v33, v226, v228, s[74:75]                // 00000000AD9C: D1000021 012BC9E2
	v_and_or_b32 v179, v33, v227, v32                          // 00000000ADA4: D20100B3 0483C721
	v_mov_b32_e32 v34, v182                                    // 00000000ADAC: 7E4403B6
	v_mov_b32_e32 v35, v183                                    // 00000000ADB0: 7E4603B7
	v_cmp_u_f32_e64 s[74:75], v34, v34                         // 00000000ADB4: D048004A 00024522
	v_bfe_u32 v226, v34, 16, 1                                 // 00000000ADBC: D1C800E2 02052122
	v_add3_u32 v226, v34, v226, v229                           // 00000000ADC4: D1FF00E2 0797C522
	v_cndmask_b32_e64 v32, v226, v228, s[74:75]                // 00000000ADCC: D1000020 012BC9E2
	v_lshrrev_b32_e32 v32, 16, v32                             // 00000000ADD4: 20404090
	v_cmp_u_f32_e64 s[74:75], v35, v35                         // 00000000ADD8: D048004A 00024723
	v_bfe_u32 v226, v35, 16, 1                                 // 00000000ADE0: D1C800E2 02052123
	v_add3_u32 v226, v35, v226, v229                           // 00000000ADE8: D1FF00E2 0797C523
	v_cndmask_b32_e64 v33, v226, v228, s[74:75]                // 00000000ADF0: D1000021 012BC9E2
	v_and_or_b32 v180, v33, v227, v32                          // 00000000ADF8: D20100B4 0483C721
	v_mov_b32_e32 v34, v184                                    // 00000000AE00: 7E4403B8
	v_mov_b32_e32 v35, v185                                    // 00000000AE04: 7E4603B9
	v_cmp_u_f32_e64 s[74:75], v34, v34                         // 00000000AE08: D048004A 00024522
	v_bfe_u32 v226, v34, 16, 1                                 // 00000000AE10: D1C800E2 02052122
	v_add3_u32 v226, v34, v226, v229                           // 00000000AE18: D1FF00E2 0797C522
	v_cndmask_b32_e64 v32, v226, v228, s[74:75]                // 00000000AE20: D1000020 012BC9E2
	v_lshrrev_b32_e32 v32, 16, v32                             // 00000000AE28: 20404090
	v_cmp_u_f32_e64 s[74:75], v35, v35                         // 00000000AE2C: D048004A 00024723
	v_bfe_u32 v226, v35, 16, 1                                 // 00000000AE34: D1C800E2 02052123
	v_add3_u32 v226, v35, v226, v229                           // 00000000AE3C: D1FF00E2 0797C523
	v_cndmask_b32_e64 v33, v226, v228, s[74:75]                // 00000000AE44: D1000021 012BC9E2
	v_and_or_b32 v181, v33, v227, v32                          // 00000000AE4C: D20100B5 0483C721
	v_mov_b32_e32 v34, v186                                    // 00000000AE54: 7E4403BA
	v_mov_b32_e32 v35, v187                                    // 00000000AE58: 7E4603BB
	v_cmp_u_f32_e64 s[74:75], v34, v34                         // 00000000AE5C: D048004A 00024522
	v_bfe_u32 v226, v34, 16, 1                                 // 00000000AE64: D1C800E2 02052122
	v_add3_u32 v226, v34, v226, v229                           // 00000000AE6C: D1FF00E2 0797C522
	v_cndmask_b32_e64 v32, v226, v228, s[74:75]                // 00000000AE74: D1000020 012BC9E2
	v_lshrrev_b32_e32 v32, 16, v32                             // 00000000AE7C: 20404090
	v_cmp_u_f32_e64 s[74:75], v35, v35                         // 00000000AE80: D048004A 00024723
	v_bfe_u32 v226, v35, 16, 1                                 // 00000000AE88: D1C800E2 02052123
	v_add3_u32 v226, v35, v226, v229                           // 00000000AE90: D1FF00E2 0797C523
	v_cndmask_b32_e64 v33, v226, v228, s[74:75]                // 00000000AE98: D1000021 012BC9E2
	v_and_or_b32 v182, v33, v227, v32                          // 00000000AEA0: D20100B6 0483C721
	v_mov_b32_e32 v34, v188                                    // 00000000AEA8: 7E4403BC
	v_mov_b32_e32 v35, v189                                    // 00000000AEAC: 7E4603BD
	v_cmp_u_f32_e64 s[74:75], v34, v34                         // 00000000AEB0: D048004A 00024522
	v_bfe_u32 v226, v34, 16, 1                                 // 00000000AEB8: D1C800E2 02052122
	v_add3_u32 v226, v34, v226, v229                           // 00000000AEC0: D1FF00E2 0797C522
	v_cndmask_b32_e64 v32, v226, v228, s[74:75]                // 00000000AEC8: D1000020 012BC9E2
	v_lshrrev_b32_e32 v32, 16, v32                             // 00000000AED0: 20404090
	v_cmp_u_f32_e64 s[74:75], v35, v35                         // 00000000AED4: D048004A 00024723
	v_bfe_u32 v226, v35, 16, 1                                 // 00000000AEDC: D1C800E2 02052123
	v_add3_u32 v226, v35, v226, v229                           // 00000000AEE4: D1FF00E2 0797C523
	v_cndmask_b32_e64 v33, v226, v228, s[74:75]                // 00000000AEEC: D1000021 012BC9E2
	v_and_or_b32 v183, v33, v227, v32                          // 00000000AEF4: D20100B7 0483C721
	v_mov_b32_e32 v34, v190                                    // 00000000AEFC: 7E4403BE
	v_mov_b32_e32 v35, v191                                    // 00000000AF00: 7E4603BF
	v_cmp_u_f32_e64 s[74:75], v34, v34                         // 00000000AF04: D048004A 00024522
	v_bfe_u32 v226, v34, 16, 1                                 // 00000000AF0C: D1C800E2 02052122
	v_add3_u32 v226, v34, v226, v229                           // 00000000AF14: D1FF00E2 0797C522
	v_cndmask_b32_e64 v32, v226, v228, s[74:75]                // 00000000AF1C: D1000020 012BC9E2
	v_lshrrev_b32_e32 v32, 16, v32                             // 00000000AF24: 20404090
	v_cmp_u_f32_e64 s[74:75], v35, v35                         // 00000000AF28: D048004A 00024723
	v_bfe_u32 v226, v35, 16, 1                                 // 00000000AF30: D1C800E2 02052123
	v_add3_u32 v226, v35, v226, v229                           // 00000000AF38: D1FF00E2 0797C523
	v_cndmask_b32_e64 v33, v226, v228, s[74:75]                // 00000000AF40: D1000021 012BC9E2
	v_and_or_b32 v184, v33, v227, v32                          // 00000000AF48: D20100B8 0483C721
	v_mov_b32_e32 v34, v192                                    // 00000000AF50: 7E4403C0
	v_mov_b32_e32 v35, v193                                    // 00000000AF54: 7E4603C1
	v_cmp_u_f32_e64 s[74:75], v34, v34                         // 00000000AF58: D048004A 00024522
	v_bfe_u32 v226, v34, 16, 1                                 // 00000000AF60: D1C800E2 02052122
	v_add3_u32 v226, v34, v226, v229                           // 00000000AF68: D1FF00E2 0797C522
	v_cndmask_b32_e64 v32, v226, v228, s[74:75]                // 00000000AF70: D1000020 012BC9E2
	v_lshrrev_b32_e32 v32, 16, v32                             // 00000000AF78: 20404090
	v_cmp_u_f32_e64 s[74:75], v35, v35                         // 00000000AF7C: D048004A 00024723
	v_bfe_u32 v226, v35, 16, 1                                 // 00000000AF84: D1C800E2 02052123
	v_add3_u32 v226, v35, v226, v229                           // 00000000AF8C: D1FF00E2 0797C523
	v_cndmask_b32_e64 v33, v226, v228, s[74:75]                // 00000000AF94: D1000021 012BC9E2
	v_and_or_b32 v185, v33, v227, v32                          // 00000000AF9C: D20100B9 0483C721
	ds_write_b64 v31, v[178:179]                               // 00000000AFA4: D89A0000 0000B21F
	ds_write_b64 v31, v[180:181] offset:544                    // 00000000AFAC: D89A0220 0000B41F
	ds_write_b64 v31, v[182:183] offset:1088                   // 00000000AFB4: D89A0440 0000B61F
	ds_write_b64 v31, v[184:185] offset:1632                   // 00000000AFBC: D89A0660 0000B81F
	s_waitcnt lgkmcnt(0)                                       // 00000000AFC4: BF8CC07F
	s_barrier                                                  // 00000000AFC8: BF8A0000
	ds_read_b64 v[178:179], v30                                // 00000000AFCC: D8EC0000 B200001E
	ds_read_b64 v[180:181], v30 offset:128                     // 00000000AFD4: D8EC0080 B400001E
	ds_read_b64 v[182:183], v30 offset:64                      // 00000000AFDC: D8EC0040 B600001E
	ds_read_b64 v[184:185], v30 offset:192                     // 00000000AFE4: D8EC00C0 B800001E
	s_waitcnt lgkmcnt(0)                                       // 00000000AFEC: BF8CC07F
	buffer_store_dwordx4 v[178:181], v14, s[40:43], 0 idxen    // 00000000AFF0: E07C2000 800AB20E
	s_mul_i32 s60, 2, s46                                      // 00000000AFF8: 923C2E82
	v_add_u32_e32 v14, s60, v14                                // 00000000AFFC: 681C1C3C
	buffer_store_dwordx4 v[182:185], v14, s[40:43], 0 idxen    // 00000000B000: E07C2000 800AB60E
	s_mul_i32 s60, 2, s46                                      // 00000000B008: 923C2E82
	v_add_u32_e32 v14, s60, v14                                // 00000000B00C: 681C1C3C
	s_mul_i32 s60, 12, s46                                     // 00000000B010: 923C2E8C
	v_add_u32_e32 v14, s60, v14                                // 00000000B014: 681C1C3C
	s_cmp_ge_i32 1, s73                                        // 00000000B018: BF034981
	s_cbranch_scc1 label_1E16                                  // 00000000B01C: BF85018E
	v_mov_b32_e32 v34, v194                                    // 00000000B020: 7E4403C2
	v_mov_b32_e32 v35, v195                                    // 00000000B024: 7E4603C3
	v_cmp_u_f32_e64 s[74:75], v34, v34                         // 00000000B028: D048004A 00024522
	v_bfe_u32 v226, v34, 16, 1                                 // 00000000B030: D1C800E2 02052122
	v_add3_u32 v226, v34, v226, v229                           // 00000000B038: D1FF00E2 0797C522
	v_cndmask_b32_e64 v32, v226, v228, s[74:75]                // 00000000B040: D1000020 012BC9E2
	v_lshrrev_b32_e32 v32, 16, v32                             // 00000000B048: 20404090
	v_cmp_u_f32_e64 s[74:75], v35, v35                         // 00000000B04C: D048004A 00024723
	v_bfe_u32 v226, v35, 16, 1                                 // 00000000B054: D1C800E2 02052123
	v_add3_u32 v226, v35, v226, v229                           // 00000000B05C: D1FF00E2 0797C523
	v_cndmask_b32_e64 v33, v226, v228, s[74:75]                // 00000000B064: D1000021 012BC9E2
	v_and_or_b32 v186, v33, v227, v32                          // 00000000B06C: D20100BA 0483C721
	v_mov_b32_e32 v34, v196                                    // 00000000B074: 7E4403C4
	v_mov_b32_e32 v35, v197                                    // 00000000B078: 7E4603C5
	v_cmp_u_f32_e64 s[74:75], v34, v34                         // 00000000B07C: D048004A 00024522
	v_bfe_u32 v226, v34, 16, 1                                 // 00000000B084: D1C800E2 02052122
	v_add3_u32 v226, v34, v226, v229                           // 00000000B08C: D1FF00E2 0797C522
	v_cndmask_b32_e64 v32, v226, v228, s[74:75]                // 00000000B094: D1000020 012BC9E2
	v_lshrrev_b32_e32 v32, 16, v32                             // 00000000B09C: 20404090
	v_cmp_u_f32_e64 s[74:75], v35, v35                         // 00000000B0A0: D048004A 00024723
	v_bfe_u32 v226, v35, 16, 1                                 // 00000000B0A8: D1C800E2 02052123
	v_add3_u32 v226, v35, v226, v229                           // 00000000B0B0: D1FF00E2 0797C523
	v_cndmask_b32_e64 v33, v226, v228, s[74:75]                // 00000000B0B8: D1000021 012BC9E2
	v_and_or_b32 v187, v33, v227, v32                          // 00000000B0C0: D20100BB 0483C721
	v_mov_b32_e32 v34, v198                                    // 00000000B0C8: 7E4403C6
	v_mov_b32_e32 v35, v199                                    // 00000000B0CC: 7E4603C7
	v_cmp_u_f32_e64 s[74:75], v34, v34                         // 00000000B0D0: D048004A 00024522
	v_bfe_u32 v226, v34, 16, 1                                 // 00000000B0D8: D1C800E2 02052122
	v_add3_u32 v226, v34, v226, v229                           // 00000000B0E0: D1FF00E2 0797C522
	v_cndmask_b32_e64 v32, v226, v228, s[74:75]                // 00000000B0E8: D1000020 012BC9E2
	v_lshrrev_b32_e32 v32, 16, v32                             // 00000000B0F0: 20404090
	v_cmp_u_f32_e64 s[74:75], v35, v35                         // 00000000B0F4: D048004A 00024723
	v_bfe_u32 v226, v35, 16, 1                                 // 00000000B0FC: D1C800E2 02052123
	v_add3_u32 v226, v35, v226, v229                           // 00000000B104: D1FF00E2 0797C523
	v_cndmask_b32_e64 v33, v226, v228, s[74:75]                // 00000000B10C: D1000021 012BC9E2
	v_and_or_b32 v188, v33, v227, v32                          // 00000000B114: D20100BC 0483C721
	v_mov_b32_e32 v34, v200                                    // 00000000B11C: 7E4403C8
	v_mov_b32_e32 v35, v201                                    // 00000000B120: 7E4603C9
	v_cmp_u_f32_e64 s[74:75], v34, v34                         // 00000000B124: D048004A 00024522
	v_bfe_u32 v226, v34, 16, 1                                 // 00000000B12C: D1C800E2 02052122
	v_add3_u32 v226, v34, v226, v229                           // 00000000B134: D1FF00E2 0797C522
	v_cndmask_b32_e64 v32, v226, v228, s[74:75]                // 00000000B13C: D1000020 012BC9E2
	v_lshrrev_b32_e32 v32, 16, v32                             // 00000000B144: 20404090
	v_cmp_u_f32_e64 s[74:75], v35, v35                         // 00000000B148: D048004A 00024723
	v_bfe_u32 v226, v35, 16, 1                                 // 00000000B150: D1C800E2 02052123
	v_add3_u32 v226, v35, v226, v229                           // 00000000B158: D1FF00E2 0797C523
	v_cndmask_b32_e64 v33, v226, v228, s[74:75]                // 00000000B160: D1000021 012BC9E2
	v_and_or_b32 v189, v33, v227, v32                          // 00000000B168: D20100BD 0483C721
	v_mov_b32_e32 v34, v202                                    // 00000000B170: 7E4403CA
	v_mov_b32_e32 v35, v203                                    // 00000000B174: 7E4603CB
	v_cmp_u_f32_e64 s[74:75], v34, v34                         // 00000000B178: D048004A 00024522
	v_bfe_u32 v226, v34, 16, 1                                 // 00000000B180: D1C800E2 02052122
	v_add3_u32 v226, v34, v226, v229                           // 00000000B188: D1FF00E2 0797C522
	v_cndmask_b32_e64 v32, v226, v228, s[74:75]                // 00000000B190: D1000020 012BC9E2
	v_lshrrev_b32_e32 v32, 16, v32                             // 00000000B198: 20404090
	v_cmp_u_f32_e64 s[74:75], v35, v35                         // 00000000B19C: D048004A 00024723
	v_bfe_u32 v226, v35, 16, 1                                 // 00000000B1A4: D1C800E2 02052123
	v_add3_u32 v226, v35, v226, v229                           // 00000000B1AC: D1FF00E2 0797C523
	v_cndmask_b32_e64 v33, v226, v228, s[74:75]                // 00000000B1B4: D1000021 012BC9E2
	v_and_or_b32 v190, v33, v227, v32                          // 00000000B1BC: D20100BE 0483C721
	v_mov_b32_e32 v34, v204                                    // 00000000B1C4: 7E4403CC
	v_mov_b32_e32 v35, v205                                    // 00000000B1C8: 7E4603CD
	v_cmp_u_f32_e64 s[74:75], v34, v34                         // 00000000B1CC: D048004A 00024522
	v_bfe_u32 v226, v34, 16, 1                                 // 00000000B1D4: D1C800E2 02052122
	v_add3_u32 v226, v34, v226, v229                           // 00000000B1DC: D1FF00E2 0797C522
	v_cndmask_b32_e64 v32, v226, v228, s[74:75]                // 00000000B1E4: D1000020 012BC9E2
	v_lshrrev_b32_e32 v32, 16, v32                             // 00000000B1EC: 20404090
	v_cmp_u_f32_e64 s[74:75], v35, v35                         // 00000000B1F0: D048004A 00024723
	v_bfe_u32 v226, v35, 16, 1                                 // 00000000B1F8: D1C800E2 02052123
	v_add3_u32 v226, v35, v226, v229                           // 00000000B200: D1FF00E2 0797C523
	v_cndmask_b32_e64 v33, v226, v228, s[74:75]                // 00000000B208: D1000021 012BC9E2
	v_and_or_b32 v191, v33, v227, v32                          // 00000000B210: D20100BF 0483C721
	v_mov_b32_e32 v34, v206                                    // 00000000B218: 7E4403CE
	v_mov_b32_e32 v35, v207                                    // 00000000B21C: 7E4603CF
	v_cmp_u_f32_e64 s[74:75], v34, v34                         // 00000000B220: D048004A 00024522
	v_bfe_u32 v226, v34, 16, 1                                 // 00000000B228: D1C800E2 02052122
	v_add3_u32 v226, v34, v226, v229                           // 00000000B230: D1FF00E2 0797C522
	v_cndmask_b32_e64 v32, v226, v228, s[74:75]                // 00000000B238: D1000020 012BC9E2
	v_lshrrev_b32_e32 v32, 16, v32                             // 00000000B240: 20404090
	v_cmp_u_f32_e64 s[74:75], v35, v35                         // 00000000B244: D048004A 00024723
	v_bfe_u32 v226, v35, 16, 1                                 // 00000000B24C: D1C800E2 02052123
	v_add3_u32 v226, v35, v226, v229                           // 00000000B254: D1FF00E2 0797C523
	v_cndmask_b32_e64 v33, v226, v228, s[74:75]                // 00000000B25C: D1000021 012BC9E2
	v_and_or_b32 v192, v33, v227, v32                          // 00000000B264: D20100C0 0483C721
	v_mov_b32_e32 v34, v208                                    // 00000000B26C: 7E4403D0
	v_mov_b32_e32 v35, v209                                    // 00000000B270: 7E4603D1
	v_cmp_u_f32_e64 s[74:75], v34, v34                         // 00000000B274: D048004A 00024522
	v_bfe_u32 v226, v34, 16, 1                                 // 00000000B27C: D1C800E2 02052122
	v_add3_u32 v226, v34, v226, v229                           // 00000000B284: D1FF00E2 0797C522
	v_cndmask_b32_e64 v32, v226, v228, s[74:75]                // 00000000B28C: D1000020 012BC9E2
	v_lshrrev_b32_e32 v32, 16, v32                             // 00000000B294: 20404090
	v_cmp_u_f32_e64 s[74:75], v35, v35                         // 00000000B298: D048004A 00024723
	v_bfe_u32 v226, v35, 16, 1                                 // 00000000B2A0: D1C800E2 02052123
	v_add3_u32 v226, v35, v226, v229                           // 00000000B2A8: D1FF00E2 0797C523
	v_cndmask_b32_e64 v33, v226, v228, s[74:75]                // 00000000B2B0: D1000021 012BC9E2
	v_and_or_b32 v193, v33, v227, v32                          // 00000000B2B8: D20100C1 0483C721
	ds_write_b64 v31, v[186:187] offset:8704                   // 00000000B2C0: D89A2200 0000BA1F
	ds_write_b64 v31, v[188:189] offset:9248                   // 00000000B2C8: D89A2420 0000BC1F
	ds_write_b64 v31, v[190:191] offset:9792                   // 00000000B2D0: D89A2640 0000BE1F
	ds_write_b64 v31, v[192:193] offset:10336                  // 00000000B2D8: D89A2860 0000C01F
	s_waitcnt lgkmcnt(0)                                       // 00000000B2E0: BF8CC07F
	s_barrier                                                  // 00000000B2E4: BF8A0000
	ds_read_b64 v[186:187], v30 offset:8704                    // 00000000B2E8: D8EC2200 BA00001E
	ds_read_b64 v[188:189], v30 offset:8832                    // 00000000B2F0: D8EC2280 BC00001E
	ds_read_b64 v[190:191], v30 offset:8768                    // 00000000B2F8: D8EC2240 BE00001E
	ds_read_b64 v[192:193], v30 offset:8896                    // 00000000B300: D8EC22C0 C000001E
	s_waitcnt lgkmcnt(0)                                       // 00000000B308: BF8CC07F
	buffer_store_dwordx4 v[186:189], v14, s[40:43], 0 idxen    // 00000000B30C: E07C2000 800ABA0E
	s_mul_i32 s60, 2, s46                                      // 00000000B314: 923C2E82
	v_add_u32_e32 v14, s60, v14                                // 00000000B318: 681C1C3C
	buffer_store_dwordx4 v[190:193], v14, s[40:43], 0 idxen    // 00000000B31C: E07C2000 800ABE0E
	s_mul_i32 s60, 2, s46                                      // 00000000B324: 923C2E82
	v_add_u32_e32 v14, s60, v14                                // 00000000B328: 681C1C3C
	s_mul_i32 s60, 12, s46                                     // 00000000B32C: 923C2E8C
	v_add_u32_e32 v14, s60, v14                                // 00000000B330: 681C1C3C
	s_cmp_ge_i32 2, s73                                        // 00000000B334: BF034982
	s_cbranch_scc1 label_1E16                                  // 00000000B338: BF8500C7
	v_mov_b32_e32 v34, v210                                    // 00000000B33C: 7E4403D2
	v_mov_b32_e32 v35, v211                                    // 00000000B340: 7E4603D3
	v_cmp_u_f32_e64 s[74:75], v34, v34                         // 00000000B344: D048004A 00024522
	v_bfe_u32 v226, v34, 16, 1                                 // 00000000B34C: D1C800E2 02052122
	v_add3_u32 v226, v34, v226, v229                           // 00000000B354: D1FF00E2 0797C522
	v_cndmask_b32_e64 v32, v226, v228, s[74:75]                // 00000000B35C: D1000020 012BC9E2
	v_lshrrev_b32_e32 v32, 16, v32                             // 00000000B364: 20404090
	v_cmp_u_f32_e64 s[74:75], v35, v35                         // 00000000B368: D048004A 00024723
	v_bfe_u32 v226, v35, 16, 1                                 // 00000000B370: D1C800E2 02052123
	v_add3_u32 v226, v35, v226, v229                           // 00000000B378: D1FF00E2 0797C523
	v_cndmask_b32_e64 v33, v226, v228, s[74:75]                // 00000000B380: D1000021 012BC9E2
	v_and_or_b32 v194, v33, v227, v32                          // 00000000B388: D20100C2 0483C721
	v_mov_b32_e32 v34, v212                                    // 00000000B390: 7E4403D4
	v_mov_b32_e32 v35, v213                                    // 00000000B394: 7E4603D5
	v_cmp_u_f32_e64 s[74:75], v34, v34                         // 00000000B398: D048004A 00024522
	v_bfe_u32 v226, v34, 16, 1                                 // 00000000B3A0: D1C800E2 02052122
	v_add3_u32 v226, v34, v226, v229                           // 00000000B3A8: D1FF00E2 0797C522
	v_cndmask_b32_e64 v32, v226, v228, s[74:75]                // 00000000B3B0: D1000020 012BC9E2
	v_lshrrev_b32_e32 v32, 16, v32                             // 00000000B3B8: 20404090
	v_cmp_u_f32_e64 s[74:75], v35, v35                         // 00000000B3BC: D048004A 00024723
	v_bfe_u32 v226, v35, 16, 1                                 // 00000000B3C4: D1C800E2 02052123
	v_add3_u32 v226, v35, v226, v229                           // 00000000B3CC: D1FF00E2 0797C523
	v_cndmask_b32_e64 v33, v226, v228, s[74:75]                // 00000000B3D4: D1000021 012BC9E2
	v_and_or_b32 v195, v33, v227, v32                          // 00000000B3DC: D20100C3 0483C721
	v_mov_b32_e32 v34, v214                                    // 00000000B3E4: 7E4403D6
	v_mov_b32_e32 v35, v215                                    // 00000000B3E8: 7E4603D7
	v_cmp_u_f32_e64 s[74:75], v34, v34                         // 00000000B3EC: D048004A 00024522
	v_bfe_u32 v226, v34, 16, 1                                 // 00000000B3F4: D1C800E2 02052122
	v_add3_u32 v226, v34, v226, v229                           // 00000000B3FC: D1FF00E2 0797C522
	v_cndmask_b32_e64 v32, v226, v228, s[74:75]                // 00000000B404: D1000020 012BC9E2
	v_lshrrev_b32_e32 v32, 16, v32                             // 00000000B40C: 20404090
	v_cmp_u_f32_e64 s[74:75], v35, v35                         // 00000000B410: D048004A 00024723
	v_bfe_u32 v226, v35, 16, 1                                 // 00000000B418: D1C800E2 02052123
	v_add3_u32 v226, v35, v226, v229                           // 00000000B420: D1FF00E2 0797C523
	v_cndmask_b32_e64 v33, v226, v228, s[74:75]                // 00000000B428: D1000021 012BC9E2
	v_and_or_b32 v196, v33, v227, v32                          // 00000000B430: D20100C4 0483C721
	v_mov_b32_e32 v34, v216                                    // 00000000B438: 7E4403D8
	v_mov_b32_e32 v35, v217                                    // 00000000B43C: 7E4603D9
	v_cmp_u_f32_e64 s[74:75], v34, v34                         // 00000000B440: D048004A 00024522
	v_bfe_u32 v226, v34, 16, 1                                 // 00000000B448: D1C800E2 02052122
	v_add3_u32 v226, v34, v226, v229                           // 00000000B450: D1FF00E2 0797C522
	v_cndmask_b32_e64 v32, v226, v228, s[74:75]                // 00000000B458: D1000020 012BC9E2
	v_lshrrev_b32_e32 v32, 16, v32                             // 00000000B460: 20404090
	v_cmp_u_f32_e64 s[74:75], v35, v35                         // 00000000B464: D048004A 00024723
	v_bfe_u32 v226, v35, 16, 1                                 // 00000000B46C: D1C800E2 02052123
	v_add3_u32 v226, v35, v226, v229                           // 00000000B474: D1FF00E2 0797C523
	v_cndmask_b32_e64 v33, v226, v228, s[74:75]                // 00000000B47C: D1000021 012BC9E2
	v_and_or_b32 v197, v33, v227, v32                          // 00000000B484: D20100C5 0483C721
	v_mov_b32_e32 v34, v218                                    // 00000000B48C: 7E4403DA
	v_mov_b32_e32 v35, v219                                    // 00000000B490: 7E4603DB
	v_cmp_u_f32_e64 s[74:75], v34, v34                         // 00000000B494: D048004A 00024522
	v_bfe_u32 v226, v34, 16, 1                                 // 00000000B49C: D1C800E2 02052122
	v_add3_u32 v226, v34, v226, v229                           // 00000000B4A4: D1FF00E2 0797C522
	v_cndmask_b32_e64 v32, v226, v228, s[74:75]                // 00000000B4AC: D1000020 012BC9E2
	v_lshrrev_b32_e32 v32, 16, v32                             // 00000000B4B4: 20404090
	v_cmp_u_f32_e64 s[74:75], v35, v35                         // 00000000B4B8: D048004A 00024723
	v_bfe_u32 v226, v35, 16, 1                                 // 00000000B4C0: D1C800E2 02052123
	v_add3_u32 v226, v35, v226, v229                           // 00000000B4C8: D1FF00E2 0797C523
	v_cndmask_b32_e64 v33, v226, v228, s[74:75]                // 00000000B4D0: D1000021 012BC9E2
	v_and_or_b32 v198, v33, v227, v32                          // 00000000B4D8: D20100C6 0483C721
	v_mov_b32_e32 v34, v220                                    // 00000000B4E0: 7E4403DC
	v_mov_b32_e32 v35, v221                                    // 00000000B4E4: 7E4603DD
	v_cmp_u_f32_e64 s[74:75], v34, v34                         // 00000000B4E8: D048004A 00024522
	v_bfe_u32 v226, v34, 16, 1                                 // 00000000B4F0: D1C800E2 02052122
	v_add3_u32 v226, v34, v226, v229                           // 00000000B4F8: D1FF00E2 0797C522
	v_cndmask_b32_e64 v32, v226, v228, s[74:75]                // 00000000B500: D1000020 012BC9E2
	v_lshrrev_b32_e32 v32, 16, v32                             // 00000000B508: 20404090
	v_cmp_u_f32_e64 s[74:75], v35, v35                         // 00000000B50C: D048004A 00024723
	v_bfe_u32 v226, v35, 16, 1                                 // 00000000B514: D1C800E2 02052123
	v_add3_u32 v226, v35, v226, v229                           // 00000000B51C: D1FF00E2 0797C523
	v_cndmask_b32_e64 v33, v226, v228, s[74:75]                // 00000000B524: D1000021 012BC9E2
	v_and_or_b32 v199, v33, v227, v32                          // 00000000B52C: D20100C7 0483C721
	v_mov_b32_e32 v34, v222                                    // 00000000B534: 7E4403DE
	v_mov_b32_e32 v35, v223                                    // 00000000B538: 7E4603DF
	v_cmp_u_f32_e64 s[74:75], v34, v34                         // 00000000B53C: D048004A 00024522
	v_bfe_u32 v226, v34, 16, 1                                 // 00000000B544: D1C800E2 02052122
	v_add3_u32 v226, v34, v226, v229                           // 00000000B54C: D1FF00E2 0797C522
	v_cndmask_b32_e64 v32, v226, v228, s[74:75]                // 00000000B554: D1000020 012BC9E2
	v_lshrrev_b32_e32 v32, 16, v32                             // 00000000B55C: 20404090
	v_cmp_u_f32_e64 s[74:75], v35, v35                         // 00000000B560: D048004A 00024723
	v_bfe_u32 v226, v35, 16, 1                                 // 00000000B568: D1C800E2 02052123
	v_add3_u32 v226, v35, v226, v229                           // 00000000B570: D1FF00E2 0797C523
	v_cndmask_b32_e64 v33, v226, v228, s[74:75]                // 00000000B578: D1000021 012BC9E2
	v_and_or_b32 v200, v33, v227, v32                          // 00000000B580: D20100C8 0483C721
	v_mov_b32_e32 v34, v224                                    // 00000000B588: 7E4403E0
	v_mov_b32_e32 v35, v225                                    // 00000000B58C: 7E4603E1
	v_cmp_u_f32_e64 s[74:75], v34, v34                         // 00000000B590: D048004A 00024522
	v_bfe_u32 v226, v34, 16, 1                                 // 00000000B598: D1C800E2 02052122
	v_add3_u32 v226, v34, v226, v229                           // 00000000B5A0: D1FF00E2 0797C522
	v_cndmask_b32_e64 v32, v226, v228, s[74:75]                // 00000000B5A8: D1000020 012BC9E2
	v_lshrrev_b32_e32 v32, 16, v32                             // 00000000B5B0: 20404090
	v_cmp_u_f32_e64 s[74:75], v35, v35                         // 00000000B5B4: D048004A 00024723
	v_bfe_u32 v226, v35, 16, 1                                 // 00000000B5BC: D1C800E2 02052123
	v_add3_u32 v226, v35, v226, v229                           // 00000000B5C4: D1FF00E2 0797C523
	v_cndmask_b32_e64 v33, v226, v228, s[74:75]                // 00000000B5CC: D1000021 012BC9E2
	v_and_or_b32 v201, v33, v227, v32                          // 00000000B5D4: D20100C9 0483C721
	ds_write_b64 v31, v[194:195] offset:17408                  // 00000000B5DC: D89A4400 0000C21F
	ds_write_b64 v31, v[196:197] offset:17952                  // 00000000B5E4: D89A4620 0000C41F
	ds_write_b64 v31, v[198:199] offset:18496                  // 00000000B5EC: D89A4840 0000C61F
	ds_write_b64 v31, v[200:201] offset:19040                  // 00000000B5F4: D89A4A60 0000C81F
	s_waitcnt lgkmcnt(0)                                       // 00000000B5FC: BF8CC07F
	s_barrier                                                  // 00000000B600: BF8A0000
	ds_read_b64 v[194:195], v30 offset:17408                   // 00000000B604: D8EC4400 C200001E
	ds_read_b64 v[196:197], v30 offset:17536                   // 00000000B60C: D8EC4480 C400001E
	ds_read_b64 v[198:199], v30 offset:17472                   // 00000000B614: D8EC4440 C600001E
	ds_read_b64 v[200:201], v30 offset:17600                   // 00000000B61C: D8EC44C0 C800001E
	s_waitcnt lgkmcnt(0)                                       // 00000000B624: BF8CC07F
	buffer_store_dwordx4 v[194:197], v14, s[40:43], 0 idxen    // 00000000B628: E07C2000 800AC20E
	s_mul_i32 s60, 2, s46                                      // 00000000B630: 923C2E82
	v_add_u32_e32 v14, s60, v14                                // 00000000B634: 681C1C3C
	buffer_store_dwordx4 v[198:201], v14, s[40:43], 0 idxen    // 00000000B638: E07C2000 800AC60E
	s_mul_i32 s60, 2, s46                                      // 00000000B640: 923C2E82
	v_add_u32_e32 v14, s60, v14                                // 00000000B644: 681C1C3C
	s_mul_i32 s60, 12, s46                                     // 00000000B648: 923C2E8C
	v_add_u32_e32 v14, s60, v14                                // 00000000B64C: 681C1C3C
	s_cmp_ge_i32 3, s73                                        // 00000000B650: BF034983
	s_cbranch_scc1 label_1E16                                  // 00000000B654: BF850000

000000000000b658 <label_1E16>:
	s_waitcnt vmcnt(0) expcnt(0) lgkmcnt(0)                    // 00000000B658: BF8C0000
	s_endpgm                                                   // 00000000B65C: BF810000
